;; amdgpu-corpus repo=ROCm/rocFFT kind=compiled arch=gfx1030 opt=O3
	.text
	.amdgcn_target "amdgcn-amd-amdhsa--gfx1030"
	.amdhsa_code_object_version 6
	.protected	bluestein_single_back_len1875_dim1_half_op_CI_CI ; -- Begin function bluestein_single_back_len1875_dim1_half_op_CI_CI
	.globl	bluestein_single_back_len1875_dim1_half_op_CI_CI
	.p2align	8
	.type	bluestein_single_back_len1875_dim1_half_op_CI_CI,@function
bluestein_single_back_len1875_dim1_half_op_CI_CI: ; @bluestein_single_back_len1875_dim1_half_op_CI_CI
; %bb.0:
	s_load_dwordx4 s[16:19], s[4:5], 0x28
	v_mul_u32_u24_e32 v1, 0x20d, v0
	v_mov_b32_e32 v33, 0
	s_mov_b32 s0, exec_lo
	v_lshrrev_b32_e32 v16, 16, v1
	v_lshl_add_u32 v32, s6, 1, v16
	s_waitcnt lgkmcnt(0)
	v_cmpx_gt_u64_e64 s[16:17], v[32:33]
	s_cbranch_execz .LBB0_2
; %bb.1:
	s_clause 0x1
	s_load_dwordx4 s[8:11], s[4:5], 0x18
	s_load_dwordx4 s[0:3], s[4:5], 0x0
	v_mul_lo_u16 v1, 0x7d, v16
	s_load_dwordx2 s[4:5], s[4:5], 0x38
	v_sub_nc_u16 v12, v0, v1
	v_and_b32_e32 v71, 0xffff, v12
	v_add_co_u32 v36, null, 0xfa, v71
	v_add_co_u32 v37, null, 0x7d, v71
	s_waitcnt lgkmcnt(0)
	s_load_dwordx4 s[12:15], s[8:9], 0x0
	v_mul_u32_u24_e32 v27, 5, v36
	v_mul_u32_u24_e32 v26, 5, v37
	s_waitcnt lgkmcnt(0)
	v_mad_u64_u32 v[1:2], null, s14, v32, 0
	v_mad_u64_u32 v[3:4], null, s12, v71, 0
	s_mul_i32 s7, s13, 0x5dc
	s_mul_hi_u32 s8, s12, 0x5dc
	s_add_i32 s7, s8, s7
	v_mov_b32_e32 v0, v2
	s_mul_i32 s8, s13, 0xffffea84
	v_mov_b32_e32 v2, v4
	s_sub_i32 s8, s8, s12
	v_mad_u64_u32 v[4:5], null, s15, v32, v[0:1]
	v_mad_u64_u32 v[5:6], null, s13, v71, v[2:3]
	v_lshlrev_b32_e32 v0, 2, v71
	v_mov_b32_e32 v2, v4
	v_add_co_u32 v46, s6, s0, v0
	v_mov_b32_e32 v4, v5
	v_add_co_ci_u32_e64 v45, null, s1, 0, s6
	v_lshlrev_b64 v[1:2], 2, v[1:2]
	s_mul_i32 s6, s12, 0x5dc
	v_lshlrev_b64 v[3:4], 2, v[3:4]
	s_clause 0x2
	global_load_dword v73, v0, s[0:1] offset:1500
	global_load_dword v75, v0, s[0:1]
	global_load_dword v67, v0, s[0:1] offset:500
	v_add_co_u32 v1, vcc_lo, s18, v1
	v_add_co_ci_u32_e32 v2, vcc_lo, s19, v2, vcc_lo
	v_add_co_u32 v1, vcc_lo, v1, v3
	v_add_co_ci_u32_e32 v2, vcc_lo, v2, v4, vcc_lo
	;; [unrolled: 2-line block ×5, first 2 shown]
	s_clause 0x1
	global_load_dword v4, v[1:2], off
	global_load_dword v3, v[5:6], off
	v_add_co_u32 v13, vcc_lo, v7, s6
	v_add_co_ci_u32_e32 v14, vcc_lo, s7, v8, vcc_lo
	global_load_dword v1, v[7:8], off
	global_load_dword v72, v[10:11], off offset:952
	v_add_co_u32 v5, vcc_lo, v13, s6
	v_add_co_ci_u32_e32 v6, vcc_lo, s7, v14, vcc_lo
	v_add_co_u32 v18, vcc_lo, 0x1000, v46
	v_add_co_ci_u32_e32 v19, vcc_lo, 0, v45, vcc_lo
	v_mad_u64_u32 v[7:8], null, 0xffffea84, s12, v[5:6]
	global_load_dword v2, v[13:14], off
	s_clause 0x1
	global_load_dword v66, v0, s[0:1] offset:2000
	global_load_dword v70, v[18:19], off offset:404
	global_load_dword v5, v[5:6], off
	s_clause 0x1
	global_load_dword v68, v[18:19], off offset:1904
	global_load_dword v65, v[10:11], off offset:1452
	v_add_nc_u32_e32 v8, s8, v8
	v_add_co_u32 v13, vcc_lo, v7, s6
	v_add_co_ci_u32_e32 v14, vcc_lo, s7, v8, vcc_lo
	v_add_co_u32 v20, vcc_lo, v13, s6
	global_load_dword v8, v[7:8], off
	v_add_co_ci_u32_e32 v21, vcc_lo, s7, v14, vcc_lo
	global_load_dword v7, v[13:14], off
	v_add_co_u32 v13, vcc_lo, v20, s6
	v_add_co_ci_u32_e32 v14, vcc_lo, s7, v21, vcc_lo
	global_load_dword v6, v[20:21], off
	v_add_co_u32 v20, vcc_lo, v13, s6
	v_add_co_ci_u32_e32 v21, vcc_lo, s7, v14, vcc_lo
	v_add_co_u32 v33, vcc_lo, 0x1800, v46
	v_add_co_ci_u32_e32 v34, vcc_lo, 0, v45, vcc_lo
	v_mad_u64_u32 v[22:23], null, 0xffffea84, s12, v[20:21]
	global_load_dword v61, v0, s[0:1] offset:1000
	global_load_dword v9, v[13:14], off
	s_clause 0x2
	global_load_dword v64, v[18:19], off offset:904
	global_load_dword v63, v[33:34], off offset:356
	;; [unrolled: 1-line block ×3, first 2 shown]
	global_load_dword v17, v[20:21], off
	global_load_dword v60, v[10:11], off offset:452
	v_add_nc_u32_e32 v23, s8, v23
	v_add_co_u32 v10, vcc_lo, v22, s6
	v_add_co_ci_u32_e32 v11, vcc_lo, s7, v23, vcc_lo
	v_add_co_u32 v20, vcc_lo, v10, s6
	global_load_dword v15, v[22:23], off
	v_add_co_ci_u32_e32 v21, vcc_lo, s7, v11, vcc_lo
	global_load_dword v14, v[10:11], off
	v_add_co_u32 v22, vcc_lo, v20, s6
	v_add_co_ci_u32_e32 v23, vcc_lo, s7, v21, vcc_lo
	global_load_dword v10, v[20:21], off
	v_add_co_u32 v20, vcc_lo, v22, s6
	v_add_co_ci_u32_e32 v21, vcc_lo, s7, v23, vcc_lo
	global_load_dword v11, v[22:23], off
	global_load_dword v13, v[20:21], off
	s_clause 0x1
	global_load_dword v58, v[18:19], off offset:1404
	global_load_dword v57, v[33:34], off offset:856
	v_and_b32_e32 v18, 1, v16
	v_mov_b32_e32 v19, 0xcccd
	v_and_b32_e32 v21, 0xff, v12
	s_load_dwordx4 s[8:11], s[10:11], 0x0
	v_mov_b32_e32 v22, 2
	v_cmp_eq_u32_e32 vcc_lo, 1, v18
	v_mul_lo_u16 v18, v12, 5
	v_and_b32_e32 v20, 0xff, v37
	v_mov_b32_e32 v16, 4
	v_cndmask_b32_e64 v35, 0, 0x1d4c, vcc_lo
	v_and_b32_e32 v25, 0xffff, v18
	v_mul_lo_u16 v18, 0xcd, v21
	v_mul_lo_u16 v21, v21, 41
	v_add_nc_u32_e32 v62, v35, v0
	v_mul_u32_u24_sdwa v0, v36, v19 dst_sel:DWORD dst_unused:UNUSED_PAD src0_sel:WORD_0 src1_sel:DWORD
	v_lshrrev_b16 v19, 10, v18
	v_lshl_add_u32 v47, v25, 2, v35
	v_lshl_add_u32 v48, v27, 2, v35
	v_add_nc_u32_e32 v76, 0x1600, v62
	v_lshrrev_b32_e32 v18, 18, v0
	v_add_nc_u32_e32 v77, 0xe00, v62
	v_add_nc_u32_e32 v74, 0x600, v62
	;; [unrolled: 1-line block ×7, first 2 shown]
	v_mul_lo_u16 v38, v18, 5
	v_lshl_add_u32 v49, v26, 2, v35
	s_waitcnt vmcnt(26)
	v_lshrrev_b32_e32 v28, 16, v4
	s_waitcnt vmcnt(25)
	v_lshrrev_b32_e32 v30, 16, v3
	v_mul_f16_sdwa v0, v75, v4 dst_sel:DWORD dst_unused:UNUSED_PAD src0_sel:WORD_1 src1_sel:DWORD
	v_mul_f16_sdwa v31, v73, v3 dst_sel:DWORD dst_unused:UNUSED_PAD src0_sel:WORD_1 src1_sel:DWORD
	;; [unrolled: 1-line block ×3, first 2 shown]
	v_fma_f16 v0, v75, v28, -v0
	v_fma_f16 v28, v73, v30, -v31
	s_waitcnt vmcnt(23)
	v_mul_f16_sdwa v31, v72, v1 dst_sel:DWORD dst_unused:UNUSED_PAD src0_sel:WORD_1 src1_sel:DWORD
	v_fmac_f16_e32 v29, v75, v4
	v_mul_f16_sdwa v4, v73, v30 dst_sel:DWORD dst_unused:UNUSED_PAD src0_sel:WORD_1 src1_sel:DWORD
	v_lshrrev_b32_e32 v30, 16, v1
	v_pack_b32_f16 v0, v29, v0
	v_fmac_f16_e32 v4, v73, v3
	s_waitcnt vmcnt(22)
	v_lshrrev_b32_e32 v3, 16, v2
	v_mul_f16_sdwa v29, v72, v30 dst_sel:DWORD dst_unused:UNUSED_PAD src0_sel:WORD_1 src1_sel:DWORD
	v_fma_f16 v30, v72, v30, -v31
	s_waitcnt vmcnt(20)
	v_mul_f16_sdwa v31, v70, v2 dst_sel:DWORD dst_unused:UNUSED_PAD src0_sel:WORD_1 src1_sel:DWORD
	v_pack_b32_f16 v4, v4, v28
	v_mul_f16_sdwa v28, v70, v3 dst_sel:DWORD dst_unused:UNUSED_PAD src0_sel:WORD_1 src1_sel:DWORD
	s_waitcnt vmcnt(19)
	v_lshrrev_b32_e32 v39, 16, v5
	v_fmac_f16_e32 v29, v72, v1
	v_fma_f16 v1, v70, v3, -v31
	s_waitcnt vmcnt(18)
	v_mul_f16_sdwa v3, v68, v5 dst_sel:DWORD dst_unused:UNUSED_PAD src0_sel:WORD_1 src1_sel:DWORD
	v_fmac_f16_e32 v28, v70, v2
	v_mul_f16_sdwa v2, v68, v39 dst_sel:DWORD dst_unused:UNUSED_PAD src0_sel:WORD_1 src1_sel:DWORD
	ds_write_b32 v62, v4 offset:1500
	v_pack_b32_f16 v4, v29, v30
	v_fma_f16 v3, v68, v39, -v3
	v_pack_b32_f16 v1, v28, v1
	v_fmac_f16_e32 v2, v68, v5
	s_waitcnt vmcnt(16)
	v_lshrrev_b32_e32 v5, 16, v8
	ds_write_b32 v62, v4 offset:3000
	v_mul_f16_sdwa v4, v67, v8 dst_sel:DWORD dst_unused:UNUSED_PAD src0_sel:WORD_1 src1_sel:DWORD
	ds_write_b32 v62, v1 offset:4500
	v_pack_b32_f16 v1, v2, v3
	v_mul_f16_sdwa v2, v67, v5 dst_sel:DWORD dst_unused:UNUSED_PAD src0_sel:WORD_1 src1_sel:DWORD
	s_waitcnt vmcnt(15)
	v_lshrrev_b32_e32 v3, 16, v7
	v_fma_f16 v4, v67, v5, -v4
	v_mul_f16_sdwa v5, v66, v7 dst_sel:DWORD dst_unused:UNUSED_PAD src0_sel:WORD_1 src1_sel:DWORD
	ds_write_b32 v62, v1 offset:6000
	v_fmac_f16_e32 v2, v67, v8
	v_mul_f16_sdwa v1, v66, v3 dst_sel:DWORD dst_unused:UNUSED_PAD src0_sel:WORD_1 src1_sel:DWORD
	s_waitcnt vmcnt(14)
	v_lshrrev_b32_e32 v8, 16, v6
	v_mul_f16_sdwa v28, v65, v6 dst_sel:DWORD dst_unused:UNUSED_PAD src0_sel:WORD_1 src1_sel:DWORD
	v_fma_f16 v3, v66, v3, -v5
	v_pack_b32_f16 v2, v2, v4
	v_fmac_f16_e32 v1, v66, v7
	s_waitcnt vmcnt(12)
	v_lshrrev_b32_e32 v7, 16, v9
	v_mul_f16_sdwa v4, v65, v8 dst_sel:DWORD dst_unused:UNUSED_PAD src0_sel:WORD_1 src1_sel:DWORD
	v_fma_f16 v5, v65, v8, -v28
	s_waitcnt vmcnt(11)
	v_mul_f16_sdwa v8, v64, v9 dst_sel:DWORD dst_unused:UNUSED_PAD src0_sel:WORD_1 src1_sel:DWORD
	ds_write2_b32 v62, v0, v2 offset1:125
	v_pack_b32_f16 v0, v1, v3
	s_waitcnt vmcnt(8)
	v_lshrrev_b32_e32 v1, 16, v17
	v_mul_f16_sdwa v2, v64, v7 dst_sel:DWORD dst_unused:UNUSED_PAD src0_sel:WORD_1 src1_sel:DWORD
	v_fmac_f16_e32 v4, v65, v6
	v_mul_f16_sdwa v3, v63, v17 dst_sel:DWORD dst_unused:UNUSED_PAD src0_sel:WORD_1 src1_sel:DWORD
	v_fma_f16 v6, v64, v7, -v8
	v_mul_f16_sdwa v7, v63, v1 dst_sel:DWORD dst_unused:UNUSED_PAD src0_sel:WORD_1 src1_sel:DWORD
	v_fmac_f16_e32 v2, v64, v9
	v_pack_b32_f16 v4, v4, v5
	v_fma_f16 v1, v63, v1, -v3
	s_waitcnt vmcnt(6)
	v_lshrrev_b32_e32 v3, 16, v15
	v_fmac_f16_e32 v7, v63, v17
	v_pack_b32_f16 v2, v2, v6
	v_mul_f16_sdwa v5, v61, v15 dst_sel:DWORD dst_unused:UNUSED_PAD src0_sel:WORD_1 src1_sel:DWORD
	s_waitcnt vmcnt(5)
	v_lshrrev_b32_e32 v6, 16, v14
	v_mul_f16_sdwa v8, v61, v3 dst_sel:DWORD dst_unused:UNUSED_PAD src0_sel:WORD_1 src1_sel:DWORD
	v_pack_b32_f16 v1, v7, v1
	v_mul_f16_sdwa v7, v60, v14 dst_sel:DWORD dst_unused:UNUSED_PAD src0_sel:WORD_1 src1_sel:DWORD
	v_fma_f16 v3, v61, v3, -v5
	v_mul_f16_sdwa v5, v60, v6 dst_sel:DWORD dst_unused:UNUSED_PAD src0_sel:WORD_1 src1_sel:DWORD
	s_waitcnt vmcnt(4)
	v_lshrrev_b32_e32 v9, 16, v10
	v_fmac_f16_e32 v8, v61, v15
	v_fma_f16 v6, v60, v6, -v7
	v_mul_f16_sdwa v7, v59, v10 dst_sel:DWORD dst_unused:UNUSED_PAD src0_sel:WORD_1 src1_sel:DWORD
	v_fmac_f16_e32 v5, v60, v14
	s_waitcnt vmcnt(3)
	v_lshrrev_b32_e32 v14, 16, v11
	s_waitcnt vmcnt(2)
	v_lshrrev_b32_e32 v17, 16, v13
	v_mul_f16_sdwa v15, v59, v9 dst_sel:DWORD dst_unused:UNUSED_PAD src0_sel:WORD_1 src1_sel:DWORD
	v_fma_f16 v7, v59, v9, -v7
	s_waitcnt vmcnt(1)
	v_mul_f16_sdwa v9, v58, v11 dst_sel:DWORD dst_unused:UNUSED_PAD src0_sel:WORD_1 src1_sel:DWORD
	v_mul_f16_sdwa v28, v58, v14 dst_sel:DWORD dst_unused:UNUSED_PAD src0_sel:WORD_1 src1_sel:DWORD
	s_waitcnt vmcnt(0)
	v_mul_f16_sdwa v29, v57, v13 dst_sel:DWORD dst_unused:UNUSED_PAD src0_sel:WORD_1 src1_sel:DWORD
	v_mul_f16_sdwa v30, v57, v17 dst_sel:DWORD dst_unused:UNUSED_PAD src0_sel:WORD_1 src1_sel:DWORD
	v_fmac_f16_e32 v15, v59, v10
	v_fma_f16 v9, v58, v14, -v9
	v_fmac_f16_e32 v28, v58, v11
	v_fma_f16 v10, v57, v17, -v29
	v_fmac_f16_e32 v30, v57, v13
	v_pack_b32_f16 v3, v8, v3
	v_pack_b32_f16 v5, v5, v6
	v_pack_b32_f16 v6, v15, v7
	v_pack_b32_f16 v7, v28, v9
	v_pack_b32_f16 v8, v30, v10
	ds_write_b32 v62, v3 offset:1000
	ds_write2_b32 v74, v0, v5 offset0:116 offset1:241
	ds_write2_b32 v23, v4, v6 offset0:107 offset1:232
	;; [unrolled: 1-line block ×4, first 2 shown]
	s_waitcnt lgkmcnt(0)
	s_barrier
	buffer_gl0_inv
	ds_read2_b32 v[0:1], v62 offset1:125
	ds_read2_b32 v[2:3], v74 offset0:116 offset1:241
	ds_read2_b32 v[4:5], v78 offset0:110 offset1:235
	;; [unrolled: 1-line block ×6, first 2 shown]
	ds_read_b32 v17, v62 offset:7000
	v_sub_nc_u16 v13, v36, v38
	v_mul_lo_u16 v14, 0xcd, v20
	v_mul_lo_u16 v15, v19, 5
	s_waitcnt lgkmcnt(0)
	s_barrier
	v_lshlrev_b16 v25, 2, v13
	v_lshrrev_b16 v14, 10, v14
	v_sub_nc_u16 v15, v12, v15
	buffer_gl0_inv
	v_mul_lo_u16 v20, v20, 41
	v_lshlrev_b32_sdwa v22, v22, v25 dst_sel:DWORD dst_unused:UNUSED_PAD src0_sel:DWORD src1_sel:WORD_0
	v_mul_lo_u16 v26, v14, 5
	v_pk_add_f16 v25, v1, v2
	v_pk_add_f16 v44, v2, v5 neg_lo:[0,1] neg_hi:[0,1]
	v_pk_add_f16 v27, v5, v6
	v_pk_add_f16 v28, v5, v6 neg_lo:[0,1] neg_hi:[0,1]
	v_pk_add_f16 v29, v2, v9
	v_pk_add_f16 v30, v10, v3
	;; [unrolled: 1-line block ×7, first 2 shown]
	v_pk_add_f16 v42, v11, v8 neg_lo:[0,1] neg_hi:[0,1]
	v_pk_add_f16 v43, v11, v4 neg_lo:[0,1] neg_hi:[0,1]
	v_pk_add_f16 v50, v5, v2 neg_lo:[0,1] neg_hi:[0,1]
	v_pk_add_f16 v51, v4, v24 neg_lo:[0,1] neg_hi:[0,1]
	v_pk_add_f16 v2, v2, v9 neg_lo:[0,1] neg_hi:[0,1]
	v_pk_add_f16 v52, v9, v6 neg_lo:[0,1] neg_hi:[0,1]
	v_pk_add_f16 v54, v8, v24 neg_lo:[0,1] neg_hi:[0,1]
	v_pk_add_f16 v81, v23, v7 neg_lo:[0,1] neg_hi:[0,1]
	v_pk_add_f16 v11, v4, v11 neg_lo:[0,1] neg_hi:[0,1]
	v_pk_add_f16 v53, v6, v9 neg_lo:[0,1] neg_hi:[0,1]
	v_pk_add_f16 v56, v3, v17 neg_lo:[0,1] neg_hi:[0,1]
	v_pk_add_f16 v80, v3, v23 neg_lo:[0,1] neg_hi:[0,1]
	v_pk_add_f16 v3, v23, v3 neg_lo:[0,1] neg_hi:[0,1]
	v_pk_fma_f16 v27, v27, 0.5, v1 op_sel_hi:[1,0,1] neg_lo:[1,0,0] neg_hi:[1,0,0]
	v_pk_fma_f16 v1, v29, 0.5, v1 op_sel_hi:[1,0,1] neg_lo:[1,0,0] neg_hi:[1,0,0]
	;; [unrolled: 1-line block ×6, first 2 shown]
	v_pk_add_f16 v5, v25, v5
	v_pk_add_f16 v4, v31, v4
	;; [unrolled: 1-line block ×5, first 2 shown]
	v_pk_mul_f16 v39, 0x3b9c, v2 op_sel_hi:[0,1]
	v_pk_mul_f16 v41, 0x3b9c, v28 op_sel_hi:[0,1]
	;; [unrolled: 1-line block ×5, first 2 shown]
	v_pk_add_f16 v55, v24, v8 neg_lo:[0,1] neg_hi:[0,1]
	v_pk_add_f16 v82, v17, v7 neg_lo:[0,1] neg_hi:[0,1]
	;; [unrolled: 1-line block ×3, first 2 shown]
	v_pk_add_f16 v30, v50, v53
	v_pk_mul_f16 v50, 0x3b9c, v56 op_sel_hi:[0,1]
	v_pk_mul_f16 v28, 0x38b4, v28 op_sel_hi:[0,1]
	;; [unrolled: 1-line block ×5, first 2 shown]
	v_pk_add_f16 v5, v5, v6
	v_pk_add_f16 v4, v4, v24
	;; [unrolled: 1-line block ×3, first 2 shown]
	v_pk_add_f16 v7, v27, v39 op_sel:[0,1] op_sel_hi:[1,0]
	v_pk_add_f16 v23, v27, v39 op_sel:[0,1] op_sel_hi:[1,0] neg_lo:[0,1] neg_hi:[0,1]
	v_pk_add_f16 v24, v1, v41 op_sel:[0,1] op_sel_hi:[1,0] neg_lo:[0,1] neg_hi:[0,1]
	v_pk_add_f16 v1, v1, v41 op_sel:[0,1] op_sel_hi:[1,0]
	v_pk_add_f16 v27, v29, v43 op_sel:[0,1] op_sel_hi:[1,0]
	v_pk_add_f16 v29, v29, v43 op_sel:[0,1] op_sel_hi:[1,0] neg_lo:[0,1] neg_hi:[0,1]
	v_pk_add_f16 v39, v0, v44 op_sel:[0,1] op_sel_hi:[1,0] neg_lo:[0,1] neg_hi:[0,1]
	v_pk_add_f16 v0, v0, v44 op_sel:[0,1] op_sel_hi:[1,0]
	v_pk_mul_f16 v54, 0x38b4, v56 op_sel_hi:[0,1]
	v_pk_add_f16 v43, v10, v52 op_sel:[0,1] op_sel_hi:[1,0] neg_lo:[0,1] neg_hi:[0,1]
	v_pk_add_f16 v10, v10, v52 op_sel:[0,1] op_sel_hi:[1,0]
	v_pk_mul_f16 v53, 0x38b4, v81 op_sel_hi:[0,1]
	v_pk_add_f16 v41, v38, v50 op_sel:[0,1] op_sel_hi:[1,0]
	v_pk_add_f16 v38, v38, v50 op_sel:[0,1] op_sel_hi:[1,0] neg_lo:[0,1] neg_hi:[0,1]
	v_pk_add_f16 v5, v5, v9
	v_pk_add_f16 v4, v4, v8
	v_pk_add_f16 v7, v7, v28 op_sel:[0,1] op_sel_hi:[1,0]
	v_pk_add_f16 v8, v23, v28 op_sel:[0,1] op_sel_hi:[1,0] neg_lo:[0,1] neg_hi:[0,1]
	v_pk_add_f16 v9, v24, v2 op_sel:[0,1] op_sel_hi:[1,0]
	v_pk_add_f16 v1, v1, v2 op_sel:[0,1] op_sel_hi:[1,0] neg_lo:[0,1] neg_hi:[0,1]
	v_pk_add_f16 v2, v6, v17
	v_pk_add_f16 v6, v27, v51 op_sel:[0,1] op_sel_hi:[1,0]
	v_pk_add_f16 v17, v29, v51 op_sel:[0,1] op_sel_hi:[1,0] neg_lo:[0,1] neg_hi:[0,1]
	v_pk_add_f16 v23, v39, v42 op_sel:[0,1] op_sel_hi:[1,0]
	v_pk_add_f16 v0, v0, v42 op_sel:[0,1] op_sel_hi:[1,0] neg_lo:[0,1] neg_hi:[0,1]
	;; [unrolled: 2-line block ×4, first 2 shown]
	v_bfi_b32 v29, 0xffff, v9, v1
	v_bfi_b32 v1, 0xffff, v1, v9
	;; [unrolled: 1-line block ×7, first 2 shown]
	v_pk_add_f16 v11, v11, v55
	v_bfi_b32 v6, 0xffff, v17, v6
	v_pk_add_f16 v3, v3, v83
	v_bfi_b32 v17, 0xffff, v28, v10
	;; [unrolled: 2-line block ×3, first 2 shown]
	v_bfi_b32 v28, 0xffff, v24, v27
	v_bfi_b32 v24, 0xffff, v27, v24
	v_pk_fma_f16 v23, 0x34f2, v31, v23 op_sel_hi:[0,1,1]
	v_pk_fma_f16 v8, 0x34f2, v11, v8 op_sel_hi:[0,1,1]
	;; [unrolled: 1-line block ×12, first 2 shown]
	ds_write2_b32 v47, v4, v23 offset1:1
	ds_write2_b32 v47, v8, v0 offset0:2 offset1:3
	ds_write_b32 v47, v6 offset:16
	ds_write2_b32 v49, v5, v9 offset1:1
	ds_write2_b32 v49, v27, v1 offset0:2 offset1:3
	ds_write_b32 v49, v7 offset:16
	ds_write2_b32 v48, v2, v11 offset1:1
	ds_write2_b32 v48, v17, v3 offset0:2 offset1:3
	ds_write_b32 v48, v10 offset:16
	v_sub_nc_u16 v17, v37, v26
	v_lshlrev_b32_sdwa v4, v16, v15 dst_sel:DWORD dst_unused:UNUSED_PAD src0_sel:DWORD src1_sel:BYTE_0
	s_waitcnt lgkmcnt(0)
	s_barrier
	buffer_gl0_inv
	v_lshlrev_b32_sdwa v8, v16, v17 dst_sel:DWORD dst_unused:UNUSED_PAD src0_sel:DWORD src1_sel:BYTE_0
	s_clause 0x2
	global_load_dwordx4 v[0:3], v22, s[2:3]
	global_load_dwordx4 v[4:7], v4, s[2:3]
	;; [unrolled: 1-line block ×3, first 2 shown]
	v_mov_b32_e32 v22, 0x47af
	v_lshrrev_b16 v25, 10, v21
	v_mov_b32_e32 v21, 25
	v_lshrrev_b16 v28, 10, v20
	v_mul_u32_u24_sdwa v22, v36, v22 dst_sel:DWORD dst_unused:UNUSED_PAD src0_sel:WORD_0 src1_sel:DWORD
	v_mul_u32_u24_sdwa v19, v19, v21 dst_sel:DWORD dst_unused:UNUSED_PAD src0_sel:WORD_0 src1_sel:DWORD
	v_lshrrev_b32_e32 v22, 16, v22
	v_sub_nc_u16 v23, v36, v22
	v_lshrrev_b16 v23, 1, v23
	v_add_nc_u16 v22, v23, v22
	v_lshrrev_b16 v24, 4, v22
	v_mul_lo_u16 v22, v25, 25
	v_mul_lo_u16 v23, v24, 25
	v_sub_nc_u16 v26, v12, v22
	v_mul_u32_u24_sdwa v12, v14, v21 dst_sel:DWORD dst_unused:UNUSED_PAD src0_sel:WORD_0 src1_sel:DWORD
	v_mad_u16 v22, v18, 25, v13
	v_add_nc_u32_sdwa v21, v19, v15 dst_sel:DWORD dst_unused:UNUSED_PAD src0_sel:DWORD src1_sel:BYTE_0
	v_sub_nc_u16 v27, v36, v23
	v_mul_lo_u16 v23, v28, 25
	v_add_nc_u32_sdwa v29, v12, v17 dst_sel:DWORD dst_unused:UNUSED_PAD src0_sel:DWORD src1_sel:BYTE_0
	v_and_b32_e32 v38, 0xffff, v22
	ds_read2_b32 v[12:13], v74 offset0:116 offset1:241
	ds_read2_b32 v[14:15], v77 offset0:104 offset1:229
	;; [unrolled: 1-line block ×3, first 2 shown]
	ds_read_b32 v31, v62 offset:7000
	ds_read2_b32 v[19:20], v79 offset0:122 offset1:247
	v_lshlrev_b16 v30, 4, v27
	v_lshl_add_u32 v82, v21, 2, v35
	ds_read2_b32 v[21:22], v78 offset0:110 offset1:235
	v_lshl_add_u32 v80, v29, 2, v35
	v_lshl_add_u32 v81, v38, 2, v35
	v_and_b32_e32 v40, 0xffff, v30
	ds_read2_b32 v[29:30], v76 offset0:92 offset1:217
	ds_read2_b32 v[38:39], v62 offset1:125
	s_waitcnt vmcnt(0) lgkmcnt(0)
	s_barrier
	buffer_gl0_inv
	v_add_co_u32 v40, s0, s2, v40
	v_add_co_ci_u32_e64 v41, null, s3, 0, s0
	v_lshrrev_b32_e32 v42, 16, v13
	v_lshrrev_b32_e32 v43, 16, v14
	;; [unrolled: 1-line block ×15, first 2 shown]
	v_mul_f16_sdwa v88, v13, v0 dst_sel:DWORD dst_unused:UNUSED_PAD src0_sel:DWORD src1_sel:WORD_1
	v_mul_f16_sdwa v89, v42, v0 dst_sel:DWORD dst_unused:UNUSED_PAD src0_sel:DWORD src1_sel:WORD_1
	v_mul_f16_sdwa v90, v14, v1 dst_sel:DWORD dst_unused:UNUSED_PAD src0_sel:DWORD src1_sel:WORD_1
	v_mul_f16_sdwa v91, v43, v1 dst_sel:DWORD dst_unused:UNUSED_PAD src0_sel:DWORD src1_sel:WORD_1
	v_mul_f16_sdwa v92, v44, v2 dst_sel:DWORD dst_unused:UNUSED_PAD src0_sel:DWORD src1_sel:WORD_1
	v_mul_f16_sdwa v93, v50, v3 dst_sel:DWORD dst_unused:UNUSED_PAD src0_sel:DWORD src1_sel:WORD_1
	v_mul_f16_sdwa v94, v18, v2 dst_sel:DWORD dst_unused:UNUSED_PAD src0_sel:DWORD src1_sel:WORD_1
	v_mul_f16_sdwa v95, v31, v3 dst_sel:DWORD dst_unused:UNUSED_PAD src0_sel:DWORD src1_sel:WORD_1
	v_mul_f16_sdwa v98, v53, v6 dst_sel:DWORD dst_unused:UNUSED_PAD src0_sel:DWORD src1_sel:WORD_1
	v_mul_f16_sdwa v99, v15, v6 dst_sel:DWORD dst_unused:UNUSED_PAD src0_sel:DWORD src1_sel:WORD_1
	v_mul_f16_sdwa v100, v54, v8 dst_sel:DWORD dst_unused:UNUSED_PAD src0_sel:DWORD src1_sel:WORD_1
	v_mul_f16_sdwa v102, v55, v5 dst_sel:DWORD dst_unused:UNUSED_PAD src0_sel:DWORD src1_sel:WORD_1
	v_mul_f16_sdwa v103, v56, v9 dst_sel:DWORD dst_unused:UNUSED_PAD src0_sel:DWORD src1_sel:WORD_1
	v_mul_f16_sdwa v104, v21, v5 dst_sel:DWORD dst_unused:UNUSED_PAD src0_sel:DWORD src1_sel:WORD_1
	v_mul_f16_sdwa v106, v83, v10 dst_sel:DWORD dst_unused:UNUSED_PAD src0_sel:DWORD src1_sel:WORD_1
	v_mul_f16_sdwa v109, v85, v11 dst_sel:DWORD dst_unused:UNUSED_PAD src0_sel:DWORD src1_sel:WORD_1
	v_mul_f16_sdwa v96, v52, v4 dst_sel:DWORD dst_unused:UNUSED_PAD src0_sel:DWORD src1_sel:WORD_1
	v_mul_f16_sdwa v97, v20, v4 dst_sel:DWORD dst_unused:UNUSED_PAD src0_sel:DWORD src1_sel:WORD_1
	v_mul_f16_sdwa v108, v84, v7 dst_sel:DWORD dst_unused:UNUSED_PAD src0_sel:DWORD src1_sel:WORD_1
	v_mul_f16_sdwa v110, v29, v7 dst_sel:DWORD dst_unused:UNUSED_PAD src0_sel:DWORD src1_sel:WORD_1
	v_mul_f16_sdwa v101, v12, v8 dst_sel:DWORD dst_unused:UNUSED_PAD src0_sel:DWORD src1_sel:WORD_1
	v_mul_f16_sdwa v105, v22, v9 dst_sel:DWORD dst_unused:UNUSED_PAD src0_sel:DWORD src1_sel:WORD_1
	v_mul_f16_sdwa v107, v17, v10 dst_sel:DWORD dst_unused:UNUSED_PAD src0_sel:DWORD src1_sel:WORD_1
	v_mul_f16_sdwa v111, v30, v11 dst_sel:DWORD dst_unused:UNUSED_PAD src0_sel:DWORD src1_sel:WORD_1
	v_fmac_f16_e32 v88, v42, v0
	v_fmac_f16_e32 v90, v43, v1
	v_fma_f16 v14, v14, v1, -v91
	v_fma_f16 v18, v18, v2, -v92
	;; [unrolled: 1-line block ×4, first 2 shown]
	v_fmac_f16_e32 v94, v44, v2
	v_fmac_f16_e32 v95, v50, v3
	v_fma_f16 v15, v15, v6, -v98
	v_fma_f16 v12, v12, v8, -v100
	;; [unrolled: 1-line block ×6, first 2 shown]
	v_fmac_f16_e32 v104, v55, v5
	v_fmac_f16_e32 v99, v53, v6
	v_fma_f16 v20, v20, v4, -v96
	v_fma_f16 v29, v29, v7, -v108
	v_fmac_f16_e32 v97, v52, v4
	v_fmac_f16_e32 v110, v84, v7
	;; [unrolled: 1-line block ×6, first 2 shown]
	v_add_f16_e32 v42, v14, v18
	v_add_f16_e32 v43, v13, v31
	v_add_f16_e32 v44, v19, v13
	v_sub_f16_e32 v50, v14, v13
	v_sub_f16_e32 v52, v18, v31
	v_add_f16_e32 v53, v90, v94
	v_add_f16_e32 v54, v88, v95
	v_add_f16_e32 v55, v51, v88
	v_add_f16_e32 v96, v39, v12
	v_sub_f16_e32 v98, v22, v12
	v_sub_f16_e32 v100, v17, v30
	v_add_f16_e32 v120, v104, v99
	;; [unrolled: 6-line block ×3, first 2 shown]
	v_add_f16_e32 v102, v105, v107
	v_add_f16_e32 v106, v86, v101
	;; [unrolled: 1-line block ×6, first 2 shown]
	v_sub_f16_e32 v84, v90, v94
	v_sub_f16_e32 v85, v14, v18
	;; [unrolled: 1-line block ×13, first 2 shown]
	v_fma_f16 v42, -0.5, v42, v19
	v_fmac_f16_e32 v19, -0.5, v43
	v_add_f16_e32 v43, v50, v52
	v_fma_f16 v50, -0.5, v53, v51
	v_fmac_f16_e32 v51, -0.5, v54
	v_add_f16_e32 v54, v98, v100
	v_fma_f16 v100, -0.5, v120, v87
	v_add_f16_e32 v22, v96, v22
	v_add_f16_e32 v14, v44, v14
	;; [unrolled: 1-line block ×3, first 2 shown]
	v_fma_f16 v55, -0.5, v129, v38
	v_sub_f16_e32 v132, v104, v99
	v_sub_f16_e32 v135, v21, v15
	v_fmac_f16_e32 v87, -0.5, v123
	v_fma_f16 v38, -0.5, v130, v38
	v_sub_f16_e32 v114, v101, v111
	v_add_f16_e32 v52, v56, v83
	v_fma_f16 v53, -0.5, v92, v39
	v_fma_f16 v56, -0.5, v102, v86
	v_add_f16_e32 v96, v106, v105
	v_sub_f16_e32 v112, v105, v107
	v_fmac_f16_e32 v39, -0.5, v93
	v_fmac_f16_e32 v86, -0.5, v103
	v_add_f16_e32 v103, v119, v104
	v_add_f16_e32 v21, v131, v21
	v_sub_f16_e32 v89, v88, v95
	v_sub_f16_e32 v108, v105, v101
	;; [unrolled: 1-line block ×8, first 2 shown]
	v_fmamk_f16 v90, v84, 0xbb9c, v19
	v_fmac_f16_e32 v19, 0x3b9c, v84
	v_fmamk_f16 v104, v85, 0x3b9c, v51
	v_fmac_f16_e32 v51, 0xbb9c, v85
	v_add_f16_e32 v17, v22, v17
	v_fmamk_f16 v22, v97, 0x3b9c, v55
	v_fmamk_f16 v105, v20, 0xbb9c, v100
	v_sub_f16_e32 v122, v15, v29
	v_sub_f16_e32 v125, v99, v110
	;; [unrolled: 1-line block ×4, first 2 shown]
	v_add_f16_e32 v14, v14, v18
	v_fmamk_f16 v18, v132, 0xbb9c, v38
	v_fmac_f16_e32 v38, 0x3b9c, v132
	v_add_f16_e32 v44, v44, v94
	v_fmamk_f16 v94, v135, 0x3b9c, v87
	v_fmac_f16_e32 v87, 0xbb9c, v135
	v_fmac_f16_e32 v55, 0xbb9c, v97
	;; [unrolled: 1-line block ×3, first 2 shown]
	v_sub_f16_e32 v128, v111, v107
	v_add_f16_e32 v96, v96, v107
	v_fmamk_f16 v106, v114, 0x3b9c, v53
	v_fmamk_f16 v107, v126, 0xbb9c, v56
	v_add_f16_e32 v15, v21, v15
	v_fmamk_f16 v21, v112, 0xbb9c, v39
	v_fmac_f16_e32 v39, 0x3b9c, v112
	v_add_f16_e32 v99, v103, v99
	v_fmamk_f16 v103, v113, 0x3b9c, v86
	v_fmac_f16_e32 v86, 0xbb9c, v113
	v_add_f16_e32 v83, v108, v109
	v_add_f16_e32 v92, v115, v116
	;; [unrolled: 1-line block ×3, first 2 shown]
	v_fmac_f16_e32 v53, 0xbb9c, v114
	v_fmac_f16_e32 v56, 0x3b9c, v126
	v_fmamk_f16 v108, v89, 0x3b9c, v42
	v_fmamk_f16 v109, v91, 0xbb9c, v50
	v_fmac_f16_e32 v42, 0xbb9c, v89
	v_fmac_f16_e32 v50, 0x3b9c, v91
	v_fmac_f16_e32 v19, 0xb8b4, v89
	v_fmac_f16_e32 v51, 0x38b4, v91
	v_fmac_f16_e32 v22, 0x38b4, v132
	v_fmac_f16_e32 v105, 0xb8b4, v135
	v_add_f16_e32 v98, v121, v122
	v_add_f16_e32 v102, v124, v125
	v_fmac_f16_e32 v18, 0x38b4, v97
	v_fmac_f16_e32 v38, 0xb8b4, v97
	v_fmac_f16_e32 v94, 0xb8b4, v20
	v_fmac_f16_e32 v87, 0x38b4, v20
	v_fmac_f16_e32 v55, 0xb8b4, v132
	v_fmac_f16_e32 v100, 0x38b4, v135
	v_add_f16_e32 v12, v12, v127
	v_add_f16_e32 v101, v101, v128
	;; [unrolled: 8-line block ×3, first 2 shown]
	v_add_f16_e32 v15, v15, v29
	v_add_f16_e32 v29, v99, v110
	v_fmac_f16_e32 v53, 0xb8b4, v112
	v_fmac_f16_e32 v56, 0x38b4, v113
	;; [unrolled: 1-line block ×12, first 2 shown]
	v_add_f16_e32 v17, v17, v30
	v_add_f16_e32 v20, v96, v111
	v_fmac_f16_e32 v18, 0x34f2, v98
	v_fmac_f16_e32 v38, 0x34f2, v98
	;; [unrolled: 1-line block ×8, first 2 shown]
	v_add_f16_e32 v14, v14, v31
	v_add_f16_e32 v30, v44, v95
	v_fmac_f16_e32 v39, 0x34f2, v54
	v_fmac_f16_e32 v86, 0x34f2, v83
	;; [unrolled: 1-line block ×4, first 2 shown]
	v_pack_b32_f16 v15, v15, v29
	v_fmac_f16_e32 v53, 0x34f2, v12
	v_fmac_f16_e32 v56, 0x34f2, v101
	v_fmac_f16_e32 v108, 0x34f2, v13
	v_fmac_f16_e32 v109, 0x34f2, v88
	v_fmac_f16_e32 v42, 0x34f2, v13
	v_fmac_f16_e32 v90, 0x34f2, v43
	v_fmac_f16_e32 v50, 0x34f2, v88
	v_fmac_f16_e32 v104, 0x34f2, v52
	v_pack_b32_f16 v13, v19, v51
	v_pack_b32_f16 v19, v22, v105
	;; [unrolled: 1-line block ×14, first 2 shown]
	ds_write2_b32 v82, v15, v19 offset1:5
	ds_write2_b32 v82, v18, v20 offset0:10 offset1:15
	ds_write_b32 v82, v22 offset:80
	ds_write2_b32 v80, v17, v29 offset1:5
	ds_write2_b32 v80, v21, v14 offset0:10 offset1:15
	ds_write_b32 v80, v30 offset:80
	;; [unrolled: 3-line block ×3, first 2 shown]
	v_sub_nc_u16 v29, v37, v23
	v_lshlrev_b32_sdwa v17, v16, v26 dst_sel:DWORD dst_unused:UNUSED_PAD src0_sel:DWORD src1_sel:BYTE_0
	s_waitcnt lgkmcnt(0)
	s_barrier
	buffer_gl0_inv
	v_lshlrev_b32_sdwa v20, v16, v29 dst_sel:DWORD dst_unused:UNUSED_PAD src0_sel:DWORD src1_sel:BYTE_0
	s_clause 0x2
	global_load_dwordx4 v[12:15], v[40:41], off offset:80
	global_load_dwordx4 v[16:19], v17, s[2:3] offset:80
	global_load_dwordx4 v[20:23], v20, s[2:3] offset:80
	v_mov_b32_e32 v30, 0x625
	v_mad_u16 v41, 0x7d, v24, v27
	v_lshlrev_b32_e32 v37, 3, v37
	v_mul_u32_u24_sdwa v30, v36, v30 dst_sel:DWORD dst_unused:UNUSED_PAD src0_sel:WORD_0 src1_sel:DWORD
	v_and_b32_e32 v41, 0xffff, v41
	v_lshrrev_b32_e32 v30, 16, v30
	v_lshl_add_u32 v84, v41, 2, v35
	v_sub_nc_u16 v31, v36, v30
	v_lshrrev_b16 v31, 1, v31
	v_add_nc_u16 v30, v31, v30
	v_mov_b32_e32 v31, 0x7d
	v_lshrrev_b16 v30, 6, v30
	v_mul_u32_u24_sdwa v25, v25, v31 dst_sel:DWORD dst_unused:UNUSED_PAD src0_sel:WORD_0 src1_sel:DWORD
	v_mul_u32_u24_sdwa v28, v28, v31 dst_sel:DWORD dst_unused:UNUSED_PAD src0_sel:WORD_0 src1_sel:DWORD
	v_mul_lo_u16 v30, 0x7d, v30
	v_add_nc_u32_sdwa v39, v25, v26 dst_sel:DWORD dst_unused:UNUSED_PAD src0_sel:DWORD src1_sel:BYTE_0
	v_add_nc_u32_sdwa v40, v28, v29 dst_sel:DWORD dst_unused:UNUSED_PAD src0_sel:DWORD src1_sel:BYTE_0
	v_sub_nc_u16 v38, v36, v30
	ds_read_b32 v52, v62 offset:7000
	ds_read2_b32 v[24:25], v77 offset0:104 offset1:229
	ds_read2_b32 v[26:27], v69 offset0:98 offset1:223
	;; [unrolled: 1-line block ×4, first 2 shown]
	v_lshl_add_u32 v85, v39, 2, v35
	v_lshl_add_u32 v83, v40, 2, v35
	ds_read2_b32 v[39:40], v78 offset0:110 offset1:235
	v_lshlrev_b16 v42, 4, v38
	v_lshlrev_b32_e32 v36, 3, v36
	v_and_b32_e32 v38, 0xffff, v38
	v_and_b32_e32 v50, 0xffff, v42
	ds_read2_b32 v[41:42], v76 offset0:92 offset1:217
	ds_read2_b32 v[43:44], v62 offset1:125
	s_waitcnt vmcnt(0) lgkmcnt(0)
	s_barrier
	buffer_gl0_inv
	v_add_co_u32 v50, s0, s2, v50
	v_lshrrev_b32_e32 v53, 16, v52
	v_lshrrev_b32_e32 v88, 16, v25
	v_lshrrev_b32_e32 v92, 16, v26
	v_lshrrev_b32_e32 v89, 16, v28
	v_lshrrev_b32_e32 v56, 16, v29
	v_lshrrev_b32_e32 v87, 16, v31
	v_lshrrev_b32_e32 v54, 16, v24
	v_lshrrev_b32_e32 v91, 16, v40
	v_lshrrev_b32_e32 v90, 16, v39
	v_lshrrev_b32_e32 v55, 16, v27
	v_lshrrev_b32_e32 v86, 16, v30
	v_add_co_ci_u32_e64 v51, null, s3, 0, s0
	v_lshrrev_b32_e32 v94, 16, v42
	v_lshrrev_b32_e32 v93, 16, v41
	v_lshrrev_b32_e32 v95, 16, v44
	v_lshrrev_b32_e32 v96, 16, v43
	v_mul_f16_sdwa v103, v29, v12 dst_sel:DWORD dst_unused:UNUSED_PAD src0_sel:DWORD src1_sel:WORD_1
	v_mul_f16_sdwa v104, v56, v12 dst_sel:DWORD dst_unused:UNUSED_PAD src0_sel:DWORD src1_sel:WORD_1
	;; [unrolled: 1-line block ×24, first 2 shown]
	v_fma_f16 v28, v28, v20, -v109
	v_fma_f16 v40, v40, v21, -v112
	;; [unrolled: 1-line block ×4, first 2 shown]
	v_fmac_f16_e32 v103, v56, v12
	v_fma_f16 v29, v29, v12, -v104
	v_fma_f16 v31, v31, v16, -v105
	;; [unrolled: 1-line block ×5, first 2 shown]
	v_fmac_f16_e32 v106, v87, v16
	v_fmac_f16_e32 v113, v90, v17
	;; [unrolled: 1-line block ×8, first 2 shown]
	v_fma_f16 v52, v52, v15, -v97
	v_fmac_f16_e32 v98, v53, v15
	v_fmac_f16_e32 v99, v54, v13
	;; [unrolled: 1-line block ×3, first 2 shown]
	v_fma_f16 v24, v24, v13, -v100
	v_fma_f16 v27, v27, v14, -v102
	v_sub_f16_e32 v100, v40, v28
	v_sub_f16_e32 v102, v26, v42
	v_add_f16_e32 v55, v30, v29
	v_add_f16_e32 v90, v86, v103
	;; [unrolled: 1-line block ×4, first 2 shown]
	v_sub_f16_e32 v109, v114, v110
	v_sub_f16_e32 v111, v116, v120
	;; [unrolled: 1-line block ×6, first 2 shown]
	v_add_f16_e32 v121, v113, v108
	v_add_f16_e32 v137, v39, v25
	;; [unrolled: 1-line block ×4, first 2 shown]
	v_sub_f16_e32 v56, v24, v29
	v_sub_f16_e32 v87, v27, v52
	v_add_f16_e32 v88, v99, v101
	v_add_f16_e32 v89, v103, v98
	;; [unrolled: 1-line block ×11, first 2 shown]
	v_sub_f16_e32 v91, v99, v103
	v_sub_f16_e32 v92, v101, v98
	;; [unrolled: 1-line block ×5, first 2 shown]
	v_fma_f16 v93, -0.5, v93, v44
	v_fmac_f16_e32 v44, -0.5, v94
	v_sub_f16_e32 v94, v24, v27
	v_sub_f16_e32 v106, v106, v119
	;; [unrolled: 1-line block ×3, first 2 shown]
	v_add_f16_e32 v109, v109, v111
	v_add_f16_e32 v111, v112, v115
	;; [unrolled: 1-line block ×3, first 2 shown]
	v_fma_f16 v117, -0.5, v121, v96
	v_add_f16_e32 v24, v55, v24
	v_add_f16_e32 v55, v90, v99
	v_fma_f16 v90, -0.5, v137, v43
	v_sub_f16_e32 v128, v28, v40
	v_fma_f16 v53, -0.5, v53, v30
	v_fmac_f16_e32 v30, -0.5, v54
	v_sub_f16_e32 v54, v39, v25
	v_add_f16_e32 v56, v56, v87
	v_sub_f16_e32 v87, v113, v108
	v_fma_f16 v88, -0.5, v88, v86
	v_fmac_f16_e32 v86, -0.5, v89
	v_sub_f16_e32 v89, v40, v26
	v_fma_f16 v104, -0.5, v104, v95
	v_fmac_f16_e32 v95, -0.5, v105
	v_sub_f16_e32 v105, v99, v101
	v_fmac_f16_e32 v96, -0.5, v125
	v_add_f16_e32 v40, v97, v40
	v_add_f16_e32 v97, v107, v114
	v_fma_f16 v43, -0.5, v102, v43
	v_sub_f16_e32 v130, v110, v114
	v_sub_f16_e32 v110, v110, v120
	;; [unrolled: 1-line block ×3, first 2 shown]
	v_add_f16_e32 v39, v136, v39
	v_add_f16_e32 v113, v127, v113
	;; [unrolled: 1-line block ×3, first 2 shown]
	v_sub_f16_e32 v92, v114, v116
	v_sub_f16_e32 v126, v108, v119
	;; [unrolled: 1-line block ×7, first 2 shown]
	v_add_f16_e32 v24, v24, v27
	v_add_f16_e32 v27, v55, v101
	v_fmamk_f16 v55, v106, 0x3b9c, v90
	v_fmamk_f16 v101, v31, 0xbb9c, v117
	v_sub_f16_e32 v123, v25, v41
	v_sub_f16_e32 v129, v42, v26
	v_sub_f16_e32 v131, v120, v116
	v_add_f16_e32 v26, v40, v26
	v_add_f16_e32 v40, v97, v116
	v_fmamk_f16 v97, v87, 0xbb9c, v43
	v_fmac_f16_e32 v43, 0x3b9c, v87
	v_fmamk_f16 v99, v54, 0x3b9c, v96
	v_fmac_f16_e32 v96, 0xbb9c, v54
	;; [unrolled: 2-line block ×4, first 2 shown]
	v_fmac_f16_e32 v90, 0xbb9c, v106
	v_fmac_f16_e32 v117, 0x3b9c, v31
	v_add_f16_e32 v25, v39, v25
	v_add_f16_e32 v39, v113, v108
	v_fmamk_f16 v108, v110, 0x3b9c, v93
	v_fmamk_f16 v113, v28, 0xbb9c, v104
	;; [unrolled: 1-line block ×3, first 2 shown]
	v_fmac_f16_e32 v44, 0x3b9c, v92
	v_fmamk_f16 v107, v89, 0x3b9c, v95
	v_fmac_f16_e32 v95, 0xbb9c, v89
	v_add_f16_e32 v118, v124, v126
	v_fmac_f16_e32 v93, 0xbb9c, v110
	v_fmac_f16_e32 v104, 0x3b9c, v28
	v_fmamk_f16 v125, v103, 0x3b9c, v53
	v_fmamk_f16 v126, v29, 0xbb9c, v88
	v_fmac_f16_e32 v53, 0xbb9c, v103
	v_fmac_f16_e32 v88, 0x3b9c, v29
	;; [unrolled: 1-line block ×4, first 2 shown]
	v_add_f16_e32 v115, v122, v123
	v_fmac_f16_e32 v97, 0x38b4, v106
	v_fmac_f16_e32 v43, 0xb8b4, v106
	;; [unrolled: 1-line block ×8, first 2 shown]
	v_add_f16_e32 v121, v128, v129
	v_add_f16_e32 v122, v130, v131
	v_fmac_f16_e32 v108, 0x38b4, v92
	v_fmac_f16_e32 v113, 0xb8b4, v89
	;; [unrolled: 1-line block ×6, first 2 shown]
	v_add_f16_e32 v123, v132, v133
	v_add_f16_e32 v124, v134, v135
	;; [unrolled: 1-line block ×4, first 2 shown]
	v_fmac_f16_e32 v93, 0xb8b4, v92
	v_fmac_f16_e32 v104, 0x38b4, v89
	;; [unrolled: 1-line block ×10, first 2 shown]
	v_add_f16_e32 v26, v26, v42
	v_add_f16_e32 v31, v40, v120
	v_add_f16_e32 v24, v24, v52
	v_add_f16_e32 v27, v27, v98
	v_fmac_f16_e32 v30, 0x34f2, v56
	v_fmac_f16_e32 v86, 0x34f2, v91
	;; [unrolled: 1-line block ×14, first 2 shown]
	v_pack_b32_f16 v25, v25, v39
	v_fmac_f16_e32 v93, 0x34f2, v121
	v_fmac_f16_e32 v104, 0x34f2, v122
	;; [unrolled: 1-line block ×8, first 2 shown]
	v_pack_b32_f16 v29, v55, v101
	v_pack_b32_f16 v26, v26, v31
	;; [unrolled: 1-line block ×14, first 2 shown]
	ds_write2_b32 v85, v25, v29 offset1:25
	ds_write2_b32 v85, v30, v31 offset0:50 offset1:75
	ds_write_b32 v85, v39 offset:400
	ds_write2_b32 v83, v26, v40 offset1:25
	ds_write2_b32 v83, v41, v28 offset0:50 offset1:75
	ds_write_b32 v83, v42 offset:400
	ds_write2_b32 v84, v24, v43 offset1:25
	ds_write2_b32 v84, v44, v27 offset0:50 offset1:75
	ds_write_b32 v84, v52 offset:400
	v_lshlrev_b32_e32 v28, 4, v71
	s_waitcnt lgkmcnt(0)
	s_barrier
	buffer_gl0_inv
	s_clause 0x1
	global_load_dwordx4 v[24:27], v[50:51], off offset:480
	global_load_dwordx4 v[28:31], v28, s[2:3] offset:480
	v_lshlrev_b32_e32 v39, 3, v71
	v_lshl_add_u32 v86, v38, 2, v35
	v_add_co_u32 v40, s0, s2, v39
	v_add_nc_u32_e32 v41, 0xfa0, v39
	v_add_co_ci_u32_e64 v42, null, s3, 0, s0
	v_add_nc_u32_e32 v43, 0xbb8, v39
	v_add_co_u32 v39, vcc_lo, 0x800, v40
	v_add_co_u32 v37, s0, s2, v37
	v_add_co_ci_u32_e32 v40, vcc_lo, 0, v42, vcc_lo
	v_add_co_ci_u32_e64 v42, null, s3, 0, s0
	v_add_co_u32 v54, s0, s2, v41
	v_add_co_ci_u32_e64 v55, null, s3, 0, s0
	v_add_co_u32 v56, s0, s2, v36
	;; [unrolled: 2-line block ×3, first 2 shown]
	v_add_co_u32 v41, vcc_lo, 0x800, v37
	ds_read_b32 v99, v62 offset:7000
	ds_read2_b32 v[36:37], v77 offset0:104 offset1:229
	ds_read2_b32 v[43:44], v69 offset0:98 offset1:223
	;; [unrolled: 1-line block ×6, first 2 shown]
	ds_read2_b32 v[93:94], v62 offset1:125
	v_add_co_ci_u32_e32 v42, vcc_lo, 0, v42, vcc_lo
	v_add_co_u32 v54, vcc_lo, 0x800, v54
	v_add_co_ci_u32_e32 v55, vcc_lo, 0, v55, vcc_lo
	v_add_co_u32 v95, vcc_lo, 0x800, v56
	v_add_co_ci_u32_e64 v98, null, s3, 0, s0
	v_add_co_ci_u32_e32 v96, vcc_lo, 0, v87, vcc_lo
	v_add_nc_u32_e32 v87, 0x1200, v86
	s_waitcnt lgkmcnt(7)
	v_lshrrev_b32_e32 v35, 16, v99
	s_waitcnt lgkmcnt(6)
	v_lshrrev_b32_e32 v38, 16, v36
	;; [unrolled: 2-line block ×4, first 2 shown]
	v_lshrrev_b32_e32 v56, 16, v44
	s_waitcnt lgkmcnt(2)
	v_lshrrev_b32_e32 v105, 16, v90
	s_waitcnt lgkmcnt(1)
	v_lshrrev_b32_e32 v108, 16, v92
	v_lshrrev_b32_e32 v100, 16, v51
	;; [unrolled: 1-line block ×6, first 2 shown]
	s_waitcnt lgkmcnt(0)
	v_lshrrev_b32_e32 v109, 16, v94
	v_lshrrev_b32_e32 v101, 16, v52
	;; [unrolled: 1-line block ×3, first 2 shown]
	v_add_nc_u32_e32 v88, 0x1600, v86
	s_waitcnt vmcnt(0)
	s_barrier
	buffer_gl0_inv
	s_mov_b32 s2, 0x9cbd821e
	s_mov_b32 s3, 0x3f4179ec
	v_mul_f16_sdwa v114, v36, v25 dst_sel:DWORD dst_unused:UNUSED_PAD src0_sel:DWORD src1_sel:WORD_1
	v_mul_f16_sdwa v121, v103, v28 dst_sel:DWORD dst_unused:UNUSED_PAD src0_sel:DWORD src1_sel:WORD_1
	;; [unrolled: 1-line block ×21, first 2 shown]
	v_fma_f16 v50, v50, v28, -v121
	v_fma_f16 v90, v90, v29, -v124
	;; [unrolled: 1-line block ×3, first 2 shown]
	v_fmac_f16_e32 v114, v38, v25
	v_fma_f16 v38, v92, v31, -v131
	v_fmac_f16_e32 v122, v103, v28
	v_fmac_f16_e32 v127, v105, v29
	;; [unrolled: 1-line block ×4, first 2 shown]
	v_mul_f16_sdwa v112, v35, v27 dst_sel:DWORD dst_unused:UNUSED_PAD src0_sel:DWORD src1_sel:WORD_1
	v_mul_f16_sdwa v117, v51, v24 dst_sel:DWORD dst_unused:UNUSED_PAD src0_sel:DWORD src1_sel:WORD_1
	;; [unrolled: 1-line block ×3, first 2 shown]
	v_fma_f16 v36, v36, v25, -v115
	v_fma_f16 v37, v37, v30, -v119
	v_fma_f16 v51, v51, v24, -v118
	v_fma_f16 v89, v89, v29, -v123
	v_fma_f16 v44, v44, v26, -v116
	v_fmac_f16_e32 v113, v35, v27
	v_fma_f16 v35, v91, v31, -v130
	v_fmac_f16_e32 v125, v104, v29
	v_fmac_f16_e32 v120, v102, v30
	;; [unrolled: 1-line block ×4, first 2 shown]
	v_fma_f16 v53, v53, v28, -v135
	v_sub_f16_e32 v115, v90, v50
	v_sub_f16_e32 v116, v43, v38
	v_add_f16_e32 v118, v127, v129
	v_add_f16_e32 v119, v122, v133
	v_fma_f16 v99, v99, v27, -v112
	v_fmac_f16_e32 v128, v56, v26
	v_fmac_f16_e32 v117, v100, v24
	v_add_f16_e32 v121, v109, v122
	v_sub_f16_e32 v123, v127, v122
	v_sub_f16_e32 v124, v129, v133
	;; [unrolled: 1-line block ×8, first 2 shown]
	v_add_f16_e32 v115, v115, v116
	v_sub_f16_e32 v116, v50, v90
	v_fma_f16 v118, -0.5, v118, v109
	v_fmac_f16_e32 v109, -0.5, v119
	v_sub_f16_e32 v119, v38, v43
	v_add_f16_e32 v56, v36, v44
	v_add_f16_e32 v91, v51, v99
	v_sub_f16_e32 v100, v36, v51
	v_sub_f16_e32 v102, v44, v99
	;; [unrolled: 1-line block ×4, first 2 shown]
	v_add_f16_e32 v108, v90, v43
	v_add_f16_e32 v110, v50, v38
	v_add_f16_e32 v92, v52, v51
	v_add_f16_e32 v103, v114, v128
	v_add_f16_e32 v104, v117, v113
	v_add_f16_e32 v112, v94, v50
	v_add_f16_e32 v123, v123, v124
	v_sub_f16_e32 v124, v122, v127
	v_add_f16_e32 v126, v126, v130
	v_sub_f16_e32 v130, v133, v129
	v_add_f16_e32 v131, v131, v135
	;; [unrolled: 2-line block ×4, first 2 shown]
	v_add_f16_e32 v119, v93, v53
	v_fma_f16 v56, -0.5, v56, v52
	v_fmac_f16_e32 v52, -0.5, v91
	v_add_f16_e32 v91, v125, v120
	v_add_f16_e32 v100, v100, v102
	;; [unrolled: 1-line block ×4, first 2 shown]
	v_sub_f16_e32 v107, v125, v134
	v_fma_f16 v108, -0.5, v108, v94
	v_fmac_f16_e32 v94, -0.5, v110
	v_sub_f16_e32 v110, v120, v132
	v_add_f16_e32 v105, v101, v117
	v_fma_f16 v103, -0.5, v103, v101
	v_fmac_f16_e32 v101, -0.5, v104
	v_add_f16_e32 v104, v111, v134
	v_add_f16_e32 v124, v124, v130
	;; [unrolled: 1-line block ×4, first 2 shown]
	v_sub_f16_e32 v137, v89, v37
	v_add_f16_e32 v89, v119, v89
	v_sub_f16_e32 v119, v90, v43
	v_add_f16_e32 v90, v112, v90
	;; [unrolled: 2-line block ×3, first 2 shown]
	v_add_f16_e32 v92, v53, v35
	v_fma_f16 v91, -0.5, v91, v111
	v_fmac_f16_e32 v111, -0.5, v102
	v_sub_f16_e32 v102, v117, v114
	v_add_f16_e32 v107, v107, v110
	v_sub_f16_e32 v110, v113, v128
	v_add_f16_e32 v104, v104, v125
	v_sub_f16_e32 v53, v53, v35
	v_sub_f16_e32 v134, v134, v132
	v_add_f16_e32 v105, v105, v114
	v_fma_f16 v92, -0.5, v92, v93
	v_fma_f16 v93, -0.5, v130, v93
	v_add_f16_e32 v102, v102, v110
	v_sub_f16_e32 v110, v125, v120
	v_sub_f16_e32 v125, v127, v129
	v_add_f16_e32 v121, v121, v127
	v_sub_f16_e32 v127, v114, v128
	v_fmamk_f16 v114, v137, 0x3b9c, v111
	v_fmac_f16_e32 v111, 0xbb9c, v137
	v_sub_f16_e32 v50, v50, v38
	v_sub_f16_e32 v122, v122, v133
	v_add_f16_e32 v37, v89, v37
	v_sub_f16_e32 v51, v51, v99
	v_sub_f16_e32 v117, v117, v113
	v_add_f16_e32 v89, v104, v120
	v_add_f16_e32 v36, v36, v44
	;; [unrolled: 1-line block ×3, first 2 shown]
	v_fmamk_f16 v105, v134, 0x3b9c, v93
	v_fmac_f16_e32 v93, 0xbb9c, v134
	v_fmamk_f16 v120, v53, 0xbb9c, v91
	v_fmamk_f16 v104, v110, 0xbb9c, v92
	v_fmac_f16_e32 v92, 0x3b9c, v110
	v_fmac_f16_e32 v91, 0x3b9c, v53
	v_fmamk_f16 v130, v127, 0xbb9c, v52
	v_fmac_f16_e32 v52, 0x3b9c, v127
	v_fmac_f16_e32 v114, 0xb8b4, v53
	;; [unrolled: 1-line block ×3, first 2 shown]
	v_fmamk_f16 v53, v112, 0x3b9c, v101
	v_fmac_f16_e32 v101, 0xbb9c, v112
	v_add_f16_e32 v43, v90, v43
	v_add_f16_e32 v90, v121, v129
	v_fmamk_f16 v121, v125, 0xbb9c, v94
	v_fmamk_f16 v128, v122, 0x3b9c, v108
	;; [unrolled: 1-line block ×3, first 2 shown]
	v_add_f16_e32 v35, v37, v35
	v_fmamk_f16 v37, v50, 0xbb9c, v118
	v_fmac_f16_e32 v94, 0x3b9c, v125
	v_fmac_f16_e32 v108, 0xbb9c, v122
	;; [unrolled: 1-line block ×4, first 2 shown]
	v_add_f16_e32 v89, v89, v132
	v_fmamk_f16 v132, v117, 0x3b9c, v56
	v_fmac_f16_e32 v56, 0xbb9c, v117
	v_fmac_f16_e32 v105, 0x38b4, v110
	;; [unrolled: 1-line block ×3, first 2 shown]
	v_fmamk_f16 v110, v51, 0xbb9c, v103
	v_fmac_f16_e32 v103, 0x3b9c, v51
	v_fmac_f16_e32 v120, 0xb8b4, v137
	;; [unrolled: 1-line block ×23, first 2 shown]
	v_add_f16_e32 v38, v43, v38
	v_add_f16_e32 v43, v90, v133
	v_fmac_f16_e32 v104, 0x34f2, v136
	v_fmac_f16_e32 v92, 0x34f2, v136
	;; [unrolled: 1-line block ×12, first 2 shown]
	v_add_f16_e32 v36, v36, v99
	v_add_f16_e32 v44, v44, v113
	v_fmac_f16_e32 v94, 0x34f2, v115
	v_fmac_f16_e32 v109, 0x34f2, v123
	;; [unrolled: 1-line block ×4, first 2 shown]
	v_pack_b32_f16 v35, v35, v89
	v_fmac_f16_e32 v132, 0x34f2, v135
	v_fmac_f16_e32 v110, 0x34f2, v102
	;; [unrolled: 1-line block ×6, first 2 shown]
	v_pack_b32_f16 v50, v105, v120
	v_pack_b32_f16 v38, v38, v43
	;; [unrolled: 1-line block ×14, first 2 shown]
	ds_write2_b32 v62, v35, v50 offset1:125
	ds_write2_b32 v79, v51, v52 offset0:122 offset1:247
	ds_write2_b32 v74, v89, v38 offset0:116 offset1:241
	;; [unrolled: 1-line block ×6, first 2 shown]
	ds_write_b32 v86, v56 offset:7000
	v_add_co_u32 v37, vcc_lo, 0x800, v97
	v_add_co_ci_u32_e32 v38, vcc_lo, 0, v98, vcc_lo
	s_waitcnt lgkmcnt(0)
	s_barrier
	buffer_gl0_inv
	s_clause 0x4
	global_load_dwordx2 v[35:36], v[54:55], off offset:432
	global_load_dwordx2 v[43:44], v[39:40], off offset:432
	;; [unrolled: 1-line block ×5, first 2 shown]
	ds_read_b32 v56, v62 offset:7000
	ds_read2_b32 v[50:51], v77 offset0:104 offset1:229
	ds_read2_b32 v[52:53], v74 offset0:116 offset1:241
	ds_read2_b32 v[54:55], v69 offset0:98 offset1:223
	ds_read2_b32 v[90:91], v78 offset0:110 offset1:235
	ds_read2_b32 v[92:93], v62 offset1:125
	ds_read2_b32 v[94:95], v76 offset0:92 offset1:217
	ds_read2_b32 v[96:97], v79 offset0:122 offset1:247
	v_add_co_u32 v98, vcc_lo, 0x1d4c, v46
	v_add_co_ci_u32_e32 v99, vcc_lo, 0, v45, vcc_lo
	v_add_co_u32 v100, vcc_lo, 0x2800, v46
	v_add_nc_u32_e32 v89, 0x1400, v62
	v_add_co_ci_u32_e32 v101, vcc_lo, 0, v45, vcc_lo
	s_waitcnt lgkmcnt(7)
	v_lshrrev_b32_e32 v102, 16, v56
	s_waitcnt lgkmcnt(6)
	v_lshrrev_b32_e32 v103, 16, v51
	;; [unrolled: 2-line block ×4, first 2 shown]
	v_lshrrev_b32_e32 v107, 16, v55
	s_waitcnt lgkmcnt(3)
	v_lshrrev_b32_e32 v108, 16, v90
	v_lshrrev_b32_e32 v111, 16, v91
	s_waitcnt lgkmcnt(1)
	v_lshrrev_b32_e32 v113, 16, v94
	v_lshrrev_b32_e32 v112, 16, v50
	;; [unrolled: 1-line block ×6, first 2 shown]
	s_waitcnt lgkmcnt(0)
	v_lshrrev_b32_e32 v115, 16, v97
	v_lshrrev_b32_e32 v116, 16, v96
	s_waitcnt vmcnt(4)
	v_mul_f16_sdwa v117, v102, v36 dst_sel:DWORD dst_unused:UNUSED_PAD src0_sel:DWORD src1_sel:WORD_1
	s_waitcnt vmcnt(3)
	v_mul_f16_sdwa v120, v106, v44 dst_sel:DWORD dst_unused:UNUSED_PAD src0_sel:DWORD src1_sel:WORD_1
	v_mul_f16_sdwa v122, v54, v44 dst_sel:DWORD dst_unused:UNUSED_PAD src0_sel:DWORD src1_sel:WORD_1
	s_waitcnt vmcnt(2)
	v_mul_f16_sdwa v123, v55, v42 dst_sel:DWORD dst_unused:UNUSED_PAD src0_sel:DWORD src1_sel:WORD_1
	v_mul_f16_sdwa v126, v90, v41 dst_sel:DWORD dst_unused:UNUSED_PAD src0_sel:DWORD src1_sel:WORD_1
	;; [unrolled: 1-line block ×8, first 2 shown]
	s_waitcnt vmcnt(1)
	v_mul_f16_sdwa v125, v111, v39 dst_sel:DWORD dst_unused:UNUSED_PAD src0_sel:DWORD src1_sel:WORD_1
	v_mul_f16_sdwa v128, v91, v39 dst_sel:DWORD dst_unused:UNUSED_PAD src0_sel:DWORD src1_sel:WORD_1
	;; [unrolled: 1-line block ×3, first 2 shown]
	s_waitcnt vmcnt(0)
	v_mul_f16_sdwa v130, v50, v37 dst_sel:DWORD dst_unused:UNUSED_PAD src0_sel:DWORD src1_sel:WORD_1
	v_mul_f16_sdwa v133, v113, v40 dst_sel:DWORD dst_unused:UNUSED_PAD src0_sel:DWORD src1_sel:WORD_1
	;; [unrolled: 1-line block ×6, first 2 shown]
	v_fma_f16 v54, v54, v44, -v120
	v_fmac_f16_e32 v131, v105, v43
	v_fmac_f16_e32 v122, v106, v44
	v_fmac_f16_e32 v123, v107, v42
	v_fma_f16 v53, v53, v43, -v132
	v_fmac_f16_e32 v126, v108, v41
	v_fma_f16 v55, v55, v42, -v121
	v_fma_f16 v90, v90, v41, -v124
	;; [unrolled: 1-line block ×5, first 2 shown]
	v_fmac_f16_e32 v118, v102, v36
	v_fmac_f16_e32 v129, v103, v35
	v_fma_f16 v94, v94, v40, -v133
	v_fmac_f16_e32 v128, v111, v39
	v_fmac_f16_e32 v135, v113, v40
	;; [unrolled: 1-line block ×4, first 2 shown]
	v_fma_f16 v50, v50, v37, -v127
	v_fma_f16 v95, v95, v38, -v134
	v_add_f16_e32 v111, v126, v123
	v_add_f16_e32 v114, v53, v54
	;; [unrolled: 1-line block ×10, first 2 shown]
	v_sub_f16_e32 v120, v131, v122
	v_sub_f16_e32 v124, v126, v123
	v_add_f16_e32 v126, v130, v136
	v_add_f16_e32 v131, v128, v135
	v_add_f16_e32 v134, v91, v94
	v_sub_f16_e32 v53, v53, v54
	v_sub_f16_e32 v90, v90, v55
	v_add_f16_e32 v121, v50, v95
	v_fmac_f16_e32 v109, -0.5, v111
	v_fmac_f16_e32 v110, -0.5, v117
	v_fma_f16 v92, -0.5, v114, v92
	v_add_f16_e32 v103, v52, v51
	v_add_f16_e32 v106, v104, v129
	;; [unrolled: 1-line block ×6, first 2 shown]
	v_sub_f16_e32 v91, v91, v94
	v_sub_f16_e32 v128, v128, v135
	;; [unrolled: 1-line block ×4, first 2 shown]
	v_fmac_f16_e32 v52, -0.5, v102
	v_fmac_f16_e32 v104, -0.5, v105
	;; [unrolled: 1-line block ×3, first 2 shown]
	v_add_f16_e32 v54, v113, v54
	v_add_f16_e32 v102, v119, v122
	;; [unrolled: 1-line block ×4, first 2 shown]
	v_fmac_f16_e32 v115, -0.5, v126
	v_fmac_f16_e32 v116, -0.5, v131
	v_fma_f16 v96, -0.5, v134, v96
	v_sub_f16_e32 v130, v130, v136
	v_sub_f16_e32 v129, v129, v118
	v_fmac_f16_e32 v97, -0.5, v121
	v_fmamk_f16 v112, v90, 0xbaee, v109
	v_fmac_f16_e32 v109, 0x3aee, v90
	v_fmamk_f16 v90, v120, 0x3aee, v92
	v_fmamk_f16 v113, v53, 0xbaee, v110
	v_fmac_f16_e32 v92, 0xbaee, v120
	v_fmac_f16_e32 v110, 0x3aee, v53
	v_fmamk_f16 v111, v51, 0xbaee, v104
	v_fmac_f16_e32 v104, 0x3aee, v51
	v_fmamk_f16 v51, v124, 0x3aee, v93
	v_pack_b32_f16 v53, v54, v102
	v_pack_b32_f16 v54, v55, v105
	v_fmamk_f16 v102, v50, 0xbaee, v115
	v_fmac_f16_e32 v115, 0x3aee, v50
	v_fmamk_f16 v50, v128, 0x3aee, v96
	v_fmamk_f16 v105, v91, 0xbaee, v116
	v_add_f16_e32 v56, v103, v56
	v_add_f16_e32 v103, v106, v118
	v_fmac_f16_e32 v93, 0xbaee, v124
	v_fmac_f16_e32 v96, 0xbaee, v128
	v_fmac_f16_e32 v116, 0x3aee, v91
	v_add_f16_e32 v94, v133, v94
	v_add_f16_e32 v107, v132, v135
	;; [unrolled: 1-line block ×4, first 2 shown]
	v_fmamk_f16 v106, v129, 0x3aee, v52
	v_fmac_f16_e32 v52, 0xbaee, v129
	v_fmamk_f16 v55, v130, 0x3aee, v97
	v_fmac_f16_e32 v97, 0xbaee, v130
	v_pack_b32_f16 v90, v90, v113
	v_pack_b32_f16 v92, v92, v110
	;; [unrolled: 1-line block ×13, first 2 shown]
	ds_write_b32 v62, v90 offset:2500
	ds_write_b32 v62, v92 offset:5000
	ds_write2_b32 v62, v53, v54 offset1:125
	ds_write2_b32 v78, v51, v50 offset0:110 offset1:235
	ds_write2_b32 v89, v93, v96 offset0:95 offset1:220
	;; [unrolled: 1-line block ×3, first 2 shown]
	ds_write_b32 v62, v95 offset:6500
	ds_write_b32 v62, v56 offset:2000
	ds_write2_b32 v77, v55, v97 offset0:104 offset1:229
	ds_write_b32 v62, v52 offset:7000
	s_waitcnt lgkmcnt(0)
	s_barrier
	buffer_gl0_inv
	global_load_dword v56, v[33:34], off offset:1356
	v_add_co_u32 v33, vcc_lo, 0x3000, v46
	v_add_co_ci_u32_e32 v34, vcc_lo, 0, v45, vcc_lo
	v_add_co_u32 v50, vcc_lo, 0x2000, v46
	v_add_co_ci_u32_e32 v51, vcc_lo, 0, v45, vcc_lo
	s_clause 0xa
	global_load_dword v94, v[98:99], off offset:500
	global_load_dword v95, v[100:101], off offset:260
	;; [unrolled: 1-line block ×11, first 2 shown]
	v_add_co_u32 v50, vcc_lo, 0x3800, v46
	v_add_co_ci_u32_e32 v51, vcc_lo, 0, v45, vcc_lo
	s_clause 0x2
	global_load_dword v101, v[33:34], off offset:212
	global_load_dword v106, v[50:51], off offset:164
	;; [unrolled: 1-line block ×3, first 2 shown]
	ds_read2_b32 v[33:34], v62 offset1:125
	ds_read2_b32 v[45:46], v78 offset0:110 offset1:235
	ds_read2_b32 v[50:51], v76 offset0:92 offset1:217
	;; [unrolled: 1-line block ×6, first 2 shown]
	ds_read_b32 v108, v62 offset:7000
	s_waitcnt lgkmcnt(7)
	v_lshrrev_b32_e32 v109, 16, v33
	v_lshrrev_b32_e32 v110, 16, v34
	s_waitcnt lgkmcnt(6)
	v_lshrrev_b32_e32 v111, 16, v45
	v_lshrrev_b32_e32 v112, 16, v46
	;; [unrolled: 3-line block ×7, first 2 shown]
	s_waitcnt lgkmcnt(0)
	v_lshrrev_b32_e32 v123, 16, v108
	s_waitcnt vmcnt(14)
	v_mul_f16_sdwa v124, v33, v56 dst_sel:DWORD dst_unused:UNUSED_PAD src0_sel:DWORD src1_sel:WORD_1
	v_mul_f16_sdwa v125, v109, v56 dst_sel:DWORD dst_unused:UNUSED_PAD src0_sel:DWORD src1_sel:WORD_1
	s_waitcnt vmcnt(13)
	v_mul_f16_sdwa v126, v110, v94 dst_sel:DWORD dst_unused:UNUSED_PAD src0_sel:DWORD src1_sel:WORD_1
	v_mul_f16_sdwa v127, v34, v94 dst_sel:DWORD dst_unused:UNUSED_PAD src0_sel:DWORD src1_sel:WORD_1
	;; [unrolled: 3-line block ×7, first 2 shown]
	s_waitcnt vmcnt(5)
	v_mul_f16_sdwa v138, v116, v98 dst_sel:DWORD dst_unused:UNUSED_PAD src0_sel:DWORD src1_sel:WORD_1
	v_fmac_f16_e32 v124, v109, v56
	v_mul_f16_sdwa v109, v52, v98 dst_sel:DWORD dst_unused:UNUSED_PAD src0_sel:DWORD src1_sel:WORD_1
	v_fma_f16 v33, v33, v56, -v125
	v_mul_f16_sdwa v56, v54, v104 dst_sel:DWORD dst_unused:UNUSED_PAD src0_sel:DWORD src1_sel:WORD_1
	v_fma_f16 v34, v34, v94, -v126
	v_mul_f16_sdwa v125, v117, v104 dst_sel:DWORD dst_unused:UNUSED_PAD src0_sel:DWORD src1_sel:WORD_1
	s_waitcnt vmcnt(4)
	v_mul_f16_sdwa v126, v118, v99 dst_sel:DWORD dst_unused:UNUSED_PAD src0_sel:DWORD src1_sel:WORD_1
	v_fmac_f16_e32 v127, v110, v94
	v_mul_f16_sdwa v94, v55, v99 dst_sel:DWORD dst_unused:UNUSED_PAD src0_sel:DWORD src1_sel:WORD_1
	s_waitcnt vmcnt(3)
	v_mul_f16_sdwa v110, v91, v100 dst_sel:DWORD dst_unused:UNUSED_PAD src0_sel:DWORD src1_sel:WORD_1
	v_fmac_f16_e32 v128, v111, v95
	v_mul_f16_sdwa v111, v119, v100 dst_sel:DWORD dst_unused:UNUSED_PAD src0_sel:DWORD src1_sel:WORD_1
	v_fma_f16 v45, v45, v95, -v129
	v_mul_f16_sdwa v95, v120, v103 dst_sel:DWORD dst_unused:UNUSED_PAD src0_sel:DWORD src1_sel:WORD_1
	v_fma_f16 v46, v46, v96, -v130
	v_mul_f16_sdwa v129, v90, v103 dst_sel:DWORD dst_unused:UNUSED_PAD src0_sel:DWORD src1_sel:WORD_1
	s_waitcnt vmcnt(2)
	v_mul_f16_sdwa v130, v92, v101 dst_sel:DWORD dst_unused:UNUSED_PAD src0_sel:DWORD src1_sel:WORD_1
	v_fmac_f16_e32 v131, v112, v96
	v_mul_f16_sdwa v96, v121, v101 dst_sel:DWORD dst_unused:UNUSED_PAD src0_sel:DWORD src1_sel:WORD_1
	s_waitcnt vmcnt(0)
	v_mul_f16_sdwa v112, v122, v107 dst_sel:DWORD dst_unused:UNUSED_PAD src0_sel:DWORD src1_sel:WORD_1
	v_fmac_f16_e32 v132, v113, v97
	v_mul_f16_sdwa v113, v93, v107 dst_sel:DWORD dst_unused:UNUSED_PAD src0_sel:DWORD src1_sel:WORD_1
	v_fma_f16 v50, v50, v97, -v133
	v_mul_f16_sdwa v97, v123, v106 dst_sel:DWORD dst_unused:UNUSED_PAD src0_sel:DWORD src1_sel:WORD_1
	v_mul_f16_sdwa v133, v108, v106 dst_sel:DWORD dst_unused:UNUSED_PAD src0_sel:DWORD src1_sel:WORD_1
	v_fma_f16 v51, v51, v102, -v134
	v_fmac_f16_e32 v135, v114, v102
	v_fmac_f16_e32 v136, v115, v105
	v_fma_f16 v53, v53, v105, -v137
	v_fma_f16 v52, v52, v98, -v138
	v_fmac_f16_e32 v109, v116, v98
	v_fmac_f16_e32 v56, v117, v104
	v_fma_f16 v54, v54, v104, -v125
	;; [unrolled: 4-line block ×4, first 2 shown]
	v_fma_f16 v93, v93, v107, -v112
	v_fmac_f16_e32 v113, v122, v107
	v_fma_f16 v95, v108, v106, -v97
	v_fmac_f16_e32 v133, v123, v106
	v_pack_b32_f16 v33, v33, v124
	v_pack_b32_f16 v34, v34, v127
	;; [unrolled: 1-line block ×15, first 2 shown]
	ds_write2_b32 v62, v33, v34 offset1:125
	ds_write2_b32 v78, v45, v46 offset0:110 offset1:235
	ds_write2_b32 v76, v50, v51 offset0:92 offset1:217
	;; [unrolled: 1-line block ×6, first 2 shown]
	ds_write_b32 v62, v93 offset:7000
	s_waitcnt lgkmcnt(0)
	s_barrier
	buffer_gl0_inv
	ds_read2_b32 v[33:34], v78 offset0:110 offset1:235
	ds_read2_b32 v[45:46], v79 offset0:122 offset1:247
	;; [unrolled: 1-line block ×4, first 2 shown]
	ds_read2_b32 v[54:55], v62 offset1:125
	ds_read2_b32 v[90:91], v69 offset0:98 offset1:223
	ds_read2_b32 v[92:93], v74 offset0:116 offset1:241
	ds_read_b32 v56, v62 offset:7000
	s_waitcnt lgkmcnt(0)
	s_barrier
	buffer_gl0_inv
	v_pk_add_f16 v94, v46, v33 neg_lo:[0,1] neg_hi:[0,1]
	v_pk_add_f16 v97, v46, v50 neg_lo:[0,1] neg_hi:[0,1]
	;; [unrolled: 1-line block ×3, first 2 shown]
	v_pk_add_f16 v96, v33, v53
	v_pk_add_f16 v98, v33, v53 neg_lo:[0,1] neg_hi:[0,1]
	v_pk_add_f16 v99, v54, v46
	v_pk_add_f16 v100, v46, v50
	;; [unrolled: 1-line block ×3, first 2 shown]
	v_pk_add_f16 v107, v92, v51 neg_lo:[0,1] neg_hi:[0,1]
	v_pk_add_f16 v46, v33, v46 neg_lo:[0,1] neg_hi:[0,1]
	;; [unrolled: 1-line block ×3, first 2 shown]
	v_pk_add_f16 v103, v92, v51
	v_pk_add_f16 v104, v55, v92
	v_pk_add_f16 v105, v92, v34 neg_lo:[0,1] neg_hi:[0,1]
	v_pk_add_f16 v106, v51, v90 neg_lo:[0,1] neg_hi:[0,1]
	;; [unrolled: 1-line block ×3, first 2 shown]
	v_pk_add_f16 v110, v93, v56
	v_pk_add_f16 v111, v45, v93
	v_pk_add_f16 v112, v93, v56 neg_lo:[0,1] neg_hi:[0,1]
	v_pk_add_f16 v114, v52, v91
	v_pk_add_f16 v115, v52, v91 neg_lo:[0,1] neg_hi:[0,1]
	v_pk_fma_f16 v96, v96, 0.5, v54 op_sel_hi:[1,0,1] neg_lo:[1,0,0] neg_hi:[1,0,0]
	v_pk_add_f16 v94, v94, v95
	v_pk_mul_f16 v95, 0x3b9c, v97 op_sel_hi:[0,1]
	v_pk_fma_f16 v54, v100, 0.5, v54 op_sel_hi:[1,0,1] neg_lo:[1,0,0] neg_hi:[1,0,0]
	v_pk_fma_f16 v100, v102, 0.5, v55 op_sel_hi:[1,0,1] neg_lo:[1,0,0] neg_hi:[1,0,0]
	v_pk_mul_f16 v102, 0x38b4, v98 op_sel_hi:[0,1]
	v_pk_add_f16 v33, v99, v33
	v_pk_mul_f16 v98, 0x3b9c, v98 op_sel_hi:[0,1]
	v_pk_mul_f16 v99, 0x3b9c, v107 op_sel_hi:[0,1]
	v_pk_add_f16 v92, v34, v92 neg_lo:[0,1] neg_hi:[0,1]
	v_pk_add_f16 v113, v93, v52 neg_lo:[0,1] neg_hi:[0,1]
	;; [unrolled: 1-line block ×3, first 2 shown]
	v_pk_fma_f16 v55, v103, 0.5, v55 op_sel_hi:[1,0,1] neg_lo:[1,0,0] neg_hi:[1,0,0]
	v_pk_add_f16 v46, v46, v101
	v_pk_add_f16 v101, v105, v106
	;; [unrolled: 1-line block ×3, first 2 shown]
	v_pk_mul_f16 v104, 0x3b9c, v108 op_sel_hi:[0,1]
	v_pk_mul_f16 v105, 0x38b4, v107 op_sel_hi:[0,1]
	v_pk_fma_f16 v106, v114, 0.5, v45 op_sel_hi:[1,0,1] neg_lo:[1,0,0] neg_hi:[1,0,0]
	v_pk_fma_f16 v45, v110, 0.5, v45 op_sel_hi:[1,0,1] neg_lo:[1,0,0] neg_hi:[1,0,0]
	v_pk_add_f16 v52, v111, v52
	v_pk_mul_f16 v107, 0x3b9c, v112 op_sel_hi:[0,1]
	v_pk_mul_f16 v110, 0x3b9c, v115 op_sel_hi:[0,1]
	;; [unrolled: 1-line block ×3, first 2 shown]
	v_pk_add_f16 v112, v96, v95 op_sel:[0,1] op_sel_hi:[1,0] neg_lo:[0,1] neg_hi:[0,1]
	v_pk_add_f16 v95, v96, v95 op_sel:[0,1] op_sel_hi:[1,0]
	v_pk_mul_f16 v97, 0x38b4, v97 op_sel_hi:[0,1]
	v_pk_add_f16 v33, v33, v53
	v_pk_add_f16 v53, v54, v98 op_sel:[0,1] op_sel_hi:[1,0]
	v_pk_add_f16 v54, v54, v98 op_sel:[0,1] op_sel_hi:[1,0] neg_lo:[0,1] neg_hi:[0,1]
	v_pk_mul_f16 v103, 0x38b4, v108 op_sel_hi:[0,1]
	v_pk_add_f16 v96, v100, v99 op_sel:[0,1] op_sel_hi:[1,0] neg_lo:[0,1] neg_hi:[0,1]
	v_pk_add_f16 v98, v100, v99 op_sel:[0,1] op_sel_hi:[1,0]
	v_pk_add_f16 v109, v90, v51 neg_lo:[0,1] neg_hi:[0,1]
	v_pk_add_f16 v116, v56, v91 neg_lo:[0,1] neg_hi:[0,1]
	;; [unrolled: 1-line block ×3, first 2 shown]
	v_pk_mul_f16 v108, 0x38b4, v115 op_sel_hi:[0,1]
	v_pk_add_f16 v34, v34, v90
	v_pk_add_f16 v90, v55, v104 op_sel:[0,1] op_sel_hi:[1,0]
	v_pk_add_f16 v55, v55, v104 op_sel:[0,1] op_sel_hi:[1,0] neg_lo:[0,1] neg_hi:[0,1]
	v_pk_add_f16 v99, v106, v107 op_sel:[0,1] op_sel_hi:[1,0] neg_lo:[0,1] neg_hi:[0,1]
	v_pk_add_f16 v100, v106, v107 op_sel:[0,1] op_sel_hi:[1,0]
	v_pk_add_f16 v52, v52, v91
	v_pk_add_f16 v91, v45, v110 op_sel:[0,1] op_sel_hi:[1,0]
	v_pk_add_f16 v45, v45, v110 op_sel:[0,1] op_sel_hi:[1,0] neg_lo:[0,1] neg_hi:[0,1]
	v_pk_add_f16 v104, v112, v102 op_sel:[0,1] op_sel_hi:[1,0] neg_lo:[0,1] neg_hi:[0,1]
	v_pk_add_f16 v95, v95, v102 op_sel:[0,1] op_sel_hi:[1,0]
	v_pk_add_f16 v33, v33, v50
	v_pk_add_f16 v50, v53, v97 op_sel:[0,1] op_sel_hi:[1,0] neg_lo:[0,1] neg_hi:[0,1]
	v_pk_add_f16 v53, v54, v97 op_sel:[0,1] op_sel_hi:[1,0]
	v_pk_add_f16 v54, v96, v103 op_sel:[0,1] op_sel_hi:[1,0] neg_lo:[0,1] neg_hi:[0,1]
	v_pk_add_f16 v96, v98, v103 op_sel:[0,1] op_sel_hi:[1,0]
	v_pk_add_f16 v34, v34, v51
	v_pk_add_f16 v51, v90, v105 op_sel:[0,1] op_sel_hi:[1,0] neg_lo:[0,1] neg_hi:[0,1]
	v_pk_add_f16 v55, v55, v105 op_sel:[0,1] op_sel_hi:[1,0]
	;; [unrolled: 5-line block ×3, first 2 shown]
	v_bfi_b32 v91, 0xffff, v104, v95
	v_bfi_b32 v98, 0xffff, v50, v53
	;; [unrolled: 1-line block ×5, first 2 shown]
	v_pk_add_f16 v92, v92, v109
	v_pk_add_f16 v109, v113, v116
	;; [unrolled: 1-line block ×3, first 2 shown]
	v_bfi_b32 v99, 0xffff, v51, v55
	v_bfi_b32 v51, 0xffff, v55, v51
	;; [unrolled: 1-line block ×7, first 2 shown]
	v_pk_fma_f16 v90, 0x34f2, v94, v91 op_sel_hi:[0,1,1]
	v_pk_fma_f16 v91, 0x34f2, v46, v98 op_sel_hi:[0,1,1]
	;; [unrolled: 1-line block ×12, first 2 shown]
	ds_write2_b32 v47, v33, v90 offset1:1
	ds_write2_b32 v47, v91, v46 offset0:2 offset1:3
	ds_write_b32 v47, v50 offset:16
	ds_write2_b32 v49, v34, v53 offset1:1
	ds_write2_b32 v49, v94, v51 offset0:2 offset1:3
	ds_write_b32 v49, v54 offset:16
	;; [unrolled: 3-line block ×3, first 2 shown]
	s_waitcnt lgkmcnt(0)
	s_barrier
	buffer_gl0_inv
	ds_read2_b32 v[45:46], v74 offset0:116 offset1:241
	ds_read2_b32 v[47:48], v78 offset0:110 offset1:235
	;; [unrolled: 1-line block ×4, first 2 shown]
	ds_read_b32 v90, v62 offset:7000
	ds_read2_b32 v[53:54], v77 offset0:104 offset1:229
	ds_read2_b32 v[33:34], v79 offset0:122 offset1:247
	ds_read2_b32 v[55:56], v62 offset1:125
	s_waitcnt lgkmcnt(0)
	s_barrier
	buffer_gl0_inv
	v_lshrrev_b32_e32 v91, 16, v45
	v_mul_f16_sdwa v92, v8, v45 dst_sel:DWORD dst_unused:UNUSED_PAD src0_sel:WORD_1 src1_sel:DWORD
	v_lshrrev_b32_e32 v93, 16, v48
	v_mul_f16_sdwa v94, v9, v48 dst_sel:DWORD dst_unused:UNUSED_PAD src0_sel:WORD_1 src1_sel:DWORD
	v_lshrrev_b32_e32 v95, 16, v49
	v_mul_f16_sdwa v96, v10, v49 dst_sel:DWORD dst_unused:UNUSED_PAD src0_sel:WORD_1 src1_sel:DWORD
	v_lshrrev_b32_e32 v97, 16, v52
	v_mul_f16_sdwa v98, v11, v52 dst_sel:DWORD dst_unused:UNUSED_PAD src0_sel:WORD_1 src1_sel:DWORD
	v_lshrrev_b32_e32 v99, 16, v46
	v_mul_f16_sdwa v100, v0, v46 dst_sel:DWORD dst_unused:UNUSED_PAD src0_sel:WORD_1 src1_sel:DWORD
	v_lshrrev_b32_e32 v101, 16, v50
	v_mul_f16_sdwa v102, v2, v50 dst_sel:DWORD dst_unused:UNUSED_PAD src0_sel:WORD_1 src1_sel:DWORD
	v_lshrrev_b32_e32 v103, 16, v90
	v_mul_f16_sdwa v104, v3, v90 dst_sel:DWORD dst_unused:UNUSED_PAD src0_sel:WORD_1 src1_sel:DWORD
	v_lshrrev_b32_e32 v105, 16, v53
	v_mul_f16_sdwa v106, v1, v53 dst_sel:DWORD dst_unused:UNUSED_PAD src0_sel:WORD_1 src1_sel:DWORD
	v_lshrrev_b32_e32 v107, 16, v47
	v_mul_f16_sdwa v108, v5, v47 dst_sel:DWORD dst_unused:UNUSED_PAD src0_sel:WORD_1 src1_sel:DWORD
	v_lshrrev_b32_e32 v109, 16, v54
	v_mul_f16_sdwa v110, v6, v54 dst_sel:DWORD dst_unused:UNUSED_PAD src0_sel:WORD_1 src1_sel:DWORD
	v_lshrrev_b32_e32 v111, 16, v51
	v_mul_f16_sdwa v112, v7, v51 dst_sel:DWORD dst_unused:UNUSED_PAD src0_sel:WORD_1 src1_sel:DWORD
	v_lshrrev_b32_e32 v113, 16, v34
	v_mul_f16_sdwa v114, v4, v34 dst_sel:DWORD dst_unused:UNUSED_PAD src0_sel:WORD_1 src1_sel:DWORD
	v_lshrrev_b32_e32 v115, 16, v33
	v_lshrrev_b32_e32 v116, 16, v56
	v_fma_f16 v92, v8, v91, -v92
	v_mul_f16_sdwa v91, v8, v91 dst_sel:DWORD dst_unused:UNUSED_PAD src0_sel:WORD_1 src1_sel:DWORD
	v_fma_f16 v94, v9, v93, -v94
	v_mul_f16_sdwa v93, v9, v93 dst_sel:DWORD dst_unused:UNUSED_PAD src0_sel:WORD_1 src1_sel:DWORD
	;; [unrolled: 2-line block ×4, first 2 shown]
	v_mul_f16_sdwa v118, v0, v99 dst_sel:DWORD dst_unused:UNUSED_PAD src0_sel:WORD_1 src1_sel:DWORD
	v_mul_f16_sdwa v119, v2, v101 dst_sel:DWORD dst_unused:UNUSED_PAD src0_sel:WORD_1 src1_sel:DWORD
	v_fma_f16 v99, v0, v99, -v100
	v_fma_f16 v100, v2, v101, -v102
	;; [unrolled: 1-line block ×3, first 2 shown]
	v_mul_f16_sdwa v102, v3, v103 dst_sel:DWORD dst_unused:UNUSED_PAD src0_sel:WORD_1 src1_sel:DWORD
	v_fma_f16 v103, v1, v105, -v106
	v_mul_f16_sdwa v104, v1, v105 dst_sel:DWORD dst_unused:UNUSED_PAD src0_sel:WORD_1 src1_sel:DWORD
	v_mul_f16_sdwa v105, v5, v107 dst_sel:DWORD dst_unused:UNUSED_PAD src0_sel:WORD_1 src1_sel:DWORD
	;; [unrolled: 1-line block ×3, first 2 shown]
	v_fma_f16 v107, v5, v107, -v108
	v_mul_f16_sdwa v108, v7, v111 dst_sel:DWORD dst_unused:UNUSED_PAD src0_sel:WORD_1 src1_sel:DWORD
	v_fma_f16 v109, v6, v109, -v110
	v_fma_f16 v110, v7, v111, -v112
	;; [unrolled: 1-line block ×3, first 2 shown]
	v_mul_f16_sdwa v112, v4, v113 dst_sel:DWORD dst_unused:UNUSED_PAD src0_sel:WORD_1 src1_sel:DWORD
	v_lshrrev_b32_e32 v117, 16, v55
	v_fmac_f16_e32 v91, v8, v45
	v_fmac_f16_e32 v93, v9, v48
	;; [unrolled: 1-line block ×12, first 2 shown]
	v_add_f16_e32 v0, v103, v100
	v_add_f16_e32 v1, v99, v101
	;; [unrolled: 1-line block ×3, first 2 shown]
	v_sub_f16_e32 v3, v103, v99
	v_sub_f16_e32 v4, v100, v101
	v_add_f16_e32 v7, v116, v92
	v_sub_f16_e32 v8, v94, v92
	v_sub_f16_e32 v9, v96, v98
	;; [unrolled: 1-line block ×6, first 2 shown]
	v_add_f16_e32 v34, v117, v111
	v_add_f16_e32 v5, v94, v96
	;; [unrolled: 1-line block ×5, first 2 shown]
	v_sub_f16_e32 v46, v107, v111
	v_sub_f16_e32 v48, v109, v110
	;; [unrolled: 1-line block ×6, first 2 shown]
	v_fma_f16 v0, -0.5, v0, v115
	v_fmac_f16_e32 v115, -0.5, v1
	v_add_f16_e32 v1, v3, v4
	v_add_f16_e32 v3, v104, v119
	;; [unrolled: 1-line block ×4, first 2 shown]
	v_sub_f16_e32 v9, v104, v118
	v_add_f16_e32 v10, v10, v11
	v_sub_f16_e32 v11, v119, v102
	v_add_f16_e32 v51, v51, v52
	v_sub_f16_e32 v52, v93, v91
	v_sub_f16_e32 v113, v95, v97
	v_add_f16_e32 v7, v7, v94
	v_sub_f16_e32 v94, v91, v93
	v_sub_f16_e32 v122, v97, v95
	v_add_f16_e32 v2, v2, v103
	v_add_f16_e32 v103, v55, v112
	;; [unrolled: 1-line block ×3, first 2 shown]
	v_sub_f16_e32 v53, v107, v109
	v_sub_f16_e32 v114, v112, v105
	v_add_f16_e32 v34, v34, v107
	v_sub_f16_e32 v107, v105, v112
	v_sub_f16_e32 v127, v112, v108
	v_add_f16_e32 v112, v112, v108
	v_fma_f16 v5, -0.5, v5, v116
	v_fmac_f16_e32 v116, -0.5, v6
	v_add_f16_e32 v6, v33, v118
	v_sub_f16_e32 v129, v93, v95
	v_fma_f16 v45, -0.5, v45, v117
	v_fmac_f16_e32 v117, -0.5, v47
	v_add_f16_e32 v47, v93, v95
	v_add_f16_e32 v46, v46, v48
	;; [unrolled: 1-line block ×5, first 2 shown]
	v_sub_f16_e32 v111, v111, v110
	v_sub_f16_e32 v125, v105, v106
	v_fma_f16 v3, -0.5, v3, v33
	v_fmac_f16_e32 v33, -0.5, v4
	v_add_f16_e32 v4, v9, v11
	v_add_f16_e32 v11, v52, v113
	v_add_f16_e32 v7, v7, v96
	v_add_f16_e32 v52, v94, v122
	v_add_f16_e32 v94, v103, v105
	v_fma_f16 v105, -0.5, v126, v55
	v_add_f16_e32 v2, v2, v100
	v_fma_f16 v55, -0.5, v112, v55
	v_sub_f16_e32 v121, v106, v108
	v_sub_f16_e32 v123, v118, v104
	;; [unrolled: 1-line block ×4, first 2 shown]
	v_add_f16_e32 v6, v6, v104
	v_fmamk_f16 v104, v129, 0xbb9c, v116
	v_fmac_f16_e32 v116, 0x3b9c, v129
	v_sub_f16_e32 v92, v92, v98
	v_fma_f16 v9, -0.5, v47, v56
	v_sub_f16_e32 v99, v99, v101
	v_sub_f16_e32 v118, v118, v102
	v_fmac_f16_e32 v56, -0.5, v48
	v_add_f16_e32 v34, v34, v109
	v_add_f16_e32 v50, v50, v93
	v_sub_f16_e32 v120, v108, v106
	v_fmamk_f16 v103, v127, 0x3b9c, v45
	v_add_f16_e32 v7, v7, v98
	v_fmamk_f16 v98, v111, 0xbb9c, v105
	v_fmamk_f16 v100, v125, 0xbb9c, v117
	v_fmac_f16_e32 v117, 0x3b9c, v125
	v_fmac_f16_e32 v45, 0xbb9c, v127
	v_add_f16_e32 v2, v2, v101
	v_fmamk_f16 v101, v53, 0x3b9c, v55
	v_fmac_f16_e32 v55, 0xbb9c, v53
	v_add_f16_e32 v48, v107, v121
	v_fmamk_f16 v93, v128, 0xbb9c, v115
	v_fmac_f16_e32 v115, 0x3b9c, v128
	v_fmamk_f16 v107, v91, 0x3b9c, v5
	v_fmac_f16_e32 v5, 0xbb9c, v91
	v_fmac_f16_e32 v116, 0xb8b4, v91
	;; [unrolled: 1-line block ×3, first 2 shown]
	v_fmamk_f16 v91, v54, 0x3b9c, v33
	v_fmac_f16_e32 v33, 0xbb9c, v54
	v_fmac_f16_e32 v105, 0x3b9c, v111
	v_add_f16_e32 v94, v94, v106
	v_fmamk_f16 v106, v92, 0xbb9c, v9
	v_sub_f16_e32 v124, v102, v119
	v_fmamk_f16 v109, v118, 0x3b9c, v0
	v_fmac_f16_e32 v0, 0xbb9c, v118
	v_add_f16_e32 v34, v34, v110
	v_add_f16_e32 v50, v50, v95
	v_fmamk_f16 v95, v90, 0x3b9c, v56
	v_fmac_f16_e32 v56, 0xbb9c, v90
	v_fmac_f16_e32 v9, 0x3b9c, v92
	v_fmamk_f16 v110, v99, 0xbb9c, v3
	v_fmac_f16_e32 v3, 0x3b9c, v99
	v_add_f16_e32 v47, v114, v120
	v_fmac_f16_e32 v103, 0x38b4, v125
	v_fmac_f16_e32 v98, 0xb8b4, v53
	;; [unrolled: 1-line block ×12, first 2 shown]
	v_add_f16_e32 v96, v123, v124
	v_fmac_f16_e32 v5, 0xb8b4, v129
	v_add_f16_e32 v6, v6, v119
	v_fmac_f16_e32 v109, 0x38b4, v128
	v_fmac_f16_e32 v0, 0xb8b4, v128
	;; [unrolled: 1-line block ×8, first 2 shown]
	v_add_f16_e32 v94, v94, v108
	v_fmac_f16_e32 v103, 0x34f2, v10
	v_fmac_f16_e32 v91, 0xb8b4, v99
	v_fmac_f16_e32 v98, 0x34f2, v47
	v_fmac_f16_e32 v100, 0x34f2, v46
	v_fmac_f16_e32 v117, 0x34f2, v46
	v_fmac_f16_e32 v45, 0x34f2, v10
	v_add_f16_e32 v10, v50, v97
	v_fmac_f16_e32 v101, 0x34f2, v48
	v_fmac_f16_e32 v55, 0x34f2, v48
	;; [unrolled: 1-line block ×10, first 2 shown]
	v_add_f16_e32 v6, v6, v102
	v_fmac_f16_e32 v109, 0x34f2, v51
	v_fmac_f16_e32 v0, 0x34f2, v51
	;; [unrolled: 1-line block ×8, first 2 shown]
	v_pack_b32_f16 v1, v94, v34
	v_fmac_f16_e32 v91, 0x34f2, v4
	v_pack_b32_f16 v8, v98, v103
	v_pack_b32_f16 v7, v10, v7
	;; [unrolled: 1-line block ×14, first 2 shown]
	ds_write2_b32 v82, v1, v8 offset1:5
	ds_write2_b32 v82, v10, v11 offset0:10 offset1:15
	ds_write_b32 v82, v33 offset:80
	ds_write2_b32 v80, v7, v34 offset1:5
	ds_write2_b32 v80, v45, v6 offset0:10 offset1:15
	ds_write_b32 v80, v5 offset:80
	;; [unrolled: 3-line block ×3, first 2 shown]
	s_waitcnt lgkmcnt(0)
	s_barrier
	buffer_gl0_inv
	ds_read2_b32 v[2:3], v74 offset0:116 offset1:241
	ds_read2_b32 v[4:5], v78 offset0:110 offset1:235
	;; [unrolled: 1-line block ×4, first 2 shown]
	ds_read_b32 v45, v62 offset:7000
	ds_read2_b32 v[10:11], v77 offset0:104 offset1:229
	ds_read2_b32 v[0:1], v79 offset0:122 offset1:247
	ds_read2_b32 v[33:34], v62 offset1:125
	s_waitcnt lgkmcnt(0)
	s_barrier
	buffer_gl0_inv
	v_lshrrev_b32_e32 v46, 16, v2
	v_mul_f16_sdwa v47, v20, v2 dst_sel:DWORD dst_unused:UNUSED_PAD src0_sel:WORD_1 src1_sel:DWORD
	v_lshrrev_b32_e32 v48, 16, v5
	v_mul_f16_sdwa v49, v21, v5 dst_sel:DWORD dst_unused:UNUSED_PAD src0_sel:WORD_1 src1_sel:DWORD
	;; [unrolled: 2-line block ×12, first 2 shown]
	v_fma_f16 v47, v20, v46, -v47
	v_mul_f16_sdwa v46, v20, v46 dst_sel:DWORD dst_unused:UNUSED_PAD src0_sel:WORD_1 src1_sel:DWORD
	v_fma_f16 v49, v21, v48, -v49
	v_mul_f16_sdwa v48, v21, v48 dst_sel:DWORD dst_unused:UNUSED_PAD src0_sel:WORD_1 src1_sel:DWORD
	;; [unrolled: 2-line block ×4, first 2 shown]
	v_mul_f16_sdwa v103, v12, v54 dst_sel:DWORD dst_unused:UNUSED_PAD src0_sel:WORD_1 src1_sel:DWORD
	v_mul_f16_sdwa v104, v14, v56 dst_sel:DWORD dst_unused:UNUSED_PAD src0_sel:WORD_1 src1_sel:DWORD
	v_fma_f16 v54, v12, v54, -v55
	v_fma_f16 v55, v14, v56, -v80
	;; [unrolled: 1-line block ×3, first 2 shown]
	v_mul_f16_sdwa v80, v15, v81 dst_sel:DWORD dst_unused:UNUSED_PAD src0_sel:WORD_1 src1_sel:DWORD
	v_fma_f16 v81, v13, v90, -v91
	v_mul_f16_sdwa v82, v13, v90 dst_sel:DWORD dst_unused:UNUSED_PAD src0_sel:WORD_1 src1_sel:DWORD
	v_mul_f16_sdwa v90, v17, v92 dst_sel:DWORD dst_unused:UNUSED_PAD src0_sel:WORD_1 src1_sel:DWORD
	;; [unrolled: 1-line block ×4, first 2 shown]
	v_fma_f16 v92, v17, v92, -v93
	v_fma_f16 v93, v18, v94, -v95
	;; [unrolled: 1-line block ×4, first 2 shown]
	v_mul_f16_sdwa v96, v16, v98 dst_sel:DWORD dst_unused:UNUSED_PAD src0_sel:WORD_1 src1_sel:DWORD
	v_lshrrev_b32_e32 v101, 16, v34
	v_lshrrev_b32_e32 v102, 16, v33
	v_fmac_f16_e32 v46, v20, v2
	v_fmac_f16_e32 v48, v21, v5
	;; [unrolled: 1-line block ×10, first 2 shown]
	v_add_f16_e32 v8, v49, v51
	v_add_f16_e32 v9, v47, v53
	v_sub_f16_e32 v11, v49, v47
	v_sub_f16_e32 v12, v51, v53
	;; [unrolled: 1-line block ×4, first 2 shown]
	v_fmac_f16_e32 v82, v13, v10
	v_add_f16_e32 v10, v101, v47
	v_add_f16_e32 v17, v102, v95
	;; [unrolled: 1-line block ×4, first 2 shown]
	v_lshrrev_b32_e32 v100, 16, v0
	v_fmac_f16_e32 v104, v14, v7
	v_add_f16_e32 v1, v81, v55
	v_add_f16_e32 v2, v54, v56
	v_sub_f16_e32 v4, v81, v54
	v_sub_f16_e32 v5, v55, v56
	;; [unrolled: 1-line block ×4, first 2 shown]
	v_fma_f16 v8, -0.5, v8, v101
	v_fmac_f16_e32 v101, -0.5, v9
	v_add_f16_e32 v9, v11, v12
	v_add_f16_e32 v11, v48, v50
	v_add_f16_e32 v12, v46, v52
	v_sub_f16_e32 v109, v48, v46
	v_sub_f16_e32 v110, v50, v52
	v_add_f16_e32 v113, v90, v91
	v_add_f16_e32 v15, v15, v16
	;; [unrolled: 1-line block ×3, first 2 shown]
	v_sub_f16_e32 v13, v49, v51
	v_sub_f16_e32 v20, v92, v93
	;; [unrolled: 1-line block ×3, first 2 shown]
	v_add_f16_e32 v114, v96, v105
	v_add_f16_e32 v17, v17, v92
	v_sub_f16_e32 v92, v96, v90
	v_fma_f16 v18, -0.5, v18, v102
	v_fmac_f16_e32 v102, -0.5, v22
	v_sub_f16_e32 v22, v105, v91
	v_add_f16_e32 v10, v10, v49
	v_sub_f16_e32 v49, v90, v91
	v_add_f16_e32 v3, v100, v54
	v_add_f16_e32 v108, v34, v46
	v_sub_f16_e32 v7, v54, v56
	v_sub_f16_e32 v19, v95, v94
	;; [unrolled: 1-line block ×4, first 2 shown]
	v_fma_f16 v1, -0.5, v1, v100
	v_fmac_f16_e32 v100, -0.5, v2
	v_add_f16_e32 v2, v4, v5
	v_add_f16_e32 v4, v82, v104
	;; [unrolled: 1-line block ×5, first 2 shown]
	v_sub_f16_e32 v23, v96, v105
	v_sub_f16_e32 v14, v47, v53
	;; [unrolled: 1-line block ×3, first 2 shown]
	v_fma_f16 v11, -0.5, v11, v34
	v_fmac_f16_e32 v34, -0.5, v12
	v_add_f16_e32 v12, v109, v110
	v_fma_f16 v109, -0.5, v113, v33
	v_add_f16_e32 v16, v16, v90
	v_sub_f16_e32 v98, v82, v103
	v_sub_f16_e32 v99, v104, v80
	;; [unrolled: 1-line block ×3, first 2 shown]
	v_fma_f16 v33, -0.5, v114, v33
	v_add_f16_e32 v22, v92, v22
	v_fmamk_f16 v92, v49, 0xbb9c, v102
	v_fmac_f16_e32 v102, 0x3b9c, v49
	v_sub_f16_e32 v112, v46, v52
	v_add_f16_e32 v3, v3, v81
	v_sub_f16_e32 v46, v46, v48
	v_add_f16_e32 v48, v108, v48
	v_sub_f16_e32 v6, v81, v55
	v_sub_f16_e32 v106, v82, v104
	;; [unrolled: 1-line block ×4, first 2 shown]
	v_add_f16_e32 v54, v54, v95
	v_sub_f16_e32 v81, v52, v50
	v_sub_f16_e32 v95, v103, v82
	;; [unrolled: 1-line block ×3, first 2 shown]
	v_fma_f16 v4, -0.5, v4, v0
	v_fmac_f16_e32 v0, -0.5, v5
	v_fmamk_f16 v90, v23, 0x3b9c, v18
	v_fmac_f16_e32 v18, 0xbb9c, v23
	v_add_f16_e32 v10, v10, v51
	v_add_f16_e32 v51, v97, v82
	;; [unrolled: 1-line block ×3, first 2 shown]
	v_sub_f16_e32 v47, v91, v105
	v_add_f16_e32 v16, v16, v91
	v_fmamk_f16 v91, v19, 0xbb9c, v109
	v_add_f16_e32 v5, v98, v99
	v_fmamk_f16 v99, v111, 0xbb9c, v101
	v_fmac_f16_e32 v101, 0x3b9c, v111
	v_fmac_f16_e32 v92, 0x38b4, v23
	;; [unrolled: 1-line block ×3, first 2 shown]
	v_fmamk_f16 v23, v20, 0x3b9c, v33
	v_fmac_f16_e32 v33, 0xbb9c, v20
	v_fmac_f16_e32 v109, 0x3b9c, v19
	v_add_f16_e32 v3, v3, v55
	v_fmamk_f16 v55, v112, 0x3b9c, v8
	v_add_f16_e32 v48, v48, v50
	v_fmamk_f16 v50, v14, 0xbb9c, v11
	v_fmamk_f16 v98, v106, 0xbb9c, v100
	v_fmac_f16_e32 v100, 0x3b9c, v106
	v_add_f16_e32 v17, v17, v93
	v_add_f16_e32 v46, v46, v81
	;; [unrolled: 1-line block ×3, first 2 shown]
	v_fmac_f16_e32 v8, 0xbb9c, v112
	v_fmamk_f16 v82, v107, 0x3b9c, v1
	v_fmac_f16_e32 v1, 0xbb9c, v107
	v_fmamk_f16 v93, v6, 0x3b9c, v0
	;; [unrolled: 2-line block ×3, first 2 shown]
	v_fmac_f16_e32 v34, 0xbb9c, v13
	v_fmac_f16_e32 v90, 0x38b4, v49
	;; [unrolled: 1-line block ×3, first 2 shown]
	v_add_f16_e32 v49, v51, v104
	v_fmac_f16_e32 v11, 0x3b9c, v14
	v_fmamk_f16 v51, v7, 0xbb9c, v4
	v_fmac_f16_e32 v4, 0x3b9c, v7
	v_fmac_f16_e32 v91, 0xb8b4, v20
	v_add_f16_e32 v47, v96, v47
	v_fmac_f16_e32 v101, 0xb8b4, v112
	v_fmac_f16_e32 v99, 0x38b4, v112
	;; [unrolled: 1-line block ×17, first 2 shown]
	v_add_f16_e32 v17, v17, v94
	v_fmac_f16_e32 v98, 0x38b4, v107
	v_add_f16_e32 v16, v16, v105
	v_fmac_f16_e32 v90, 0x34f2, v15
	v_fmac_f16_e32 v93, 0xb8b4, v7
	;; [unrolled: 1-line block ×3, first 2 shown]
	v_add_f16_e32 v10, v10, v53
	v_add_f16_e32 v3, v3, v56
	v_fmac_f16_e32 v101, 0x34f2, v9
	v_fmac_f16_e32 v92, 0x34f2, v21
	;; [unrolled: 1-line block ×4, first 2 shown]
	v_add_f16_e32 v15, v48, v52
	v_fmac_f16_e32 v99, 0x34f2, v9
	v_add_f16_e32 v9, v49, v80
	v_fmac_f16_e32 v23, 0x34f2, v47
	v_fmac_f16_e32 v33, 0x34f2, v47
	;; [unrolled: 1-line block ×16, first 2 shown]
	v_pack_b32_f16 v2, v16, v17
	v_fmac_f16_e32 v93, 0x34f2, v5
	v_pack_b32_f16 v7, v91, v90
	v_pack_b32_f16 v5, v15, v10
	;; [unrolled: 1-line block ×14, first 2 shown]
	ds_write2_b32 v85, v2, v7 offset1:25
	ds_write2_b32 v85, v9, v10 offset0:50 offset1:75
	ds_write_b32 v85, v12 offset:400
	ds_write2_b32 v83, v5, v13 offset1:25
	ds_write2_b32 v83, v14, v6 offset0:50 offset1:75
	ds_write_b32 v83, v8 offset:400
	;; [unrolled: 3-line block ×3, first 2 shown]
	s_waitcnt lgkmcnt(0)
	s_barrier
	buffer_gl0_inv
	ds_read_b32 v14, v62 offset:7000
	ds_read2_b32 v[6:7], v74 offset0:116 offset1:241
	ds_read2_b32 v[8:9], v77 offset0:104 offset1:229
	;; [unrolled: 1-line block ×6, first 2 shown]
	ds_read2_b32 v[2:3], v62 offset1:125
	s_waitcnt lgkmcnt(0)
	s_barrier
	buffer_gl0_inv
	v_lshrrev_b32_e32 v15, 16, v14
	v_mul_f16_sdwa v16, v27, v14 dst_sel:DWORD dst_unused:UNUSED_PAD src0_sel:WORD_1 src1_sel:DWORD
	v_lshrrev_b32_e32 v17, 16, v7
	v_lshrrev_b32_e32 v18, 16, v8
	v_mul_f16_sdwa v19, v24, v7 dst_sel:DWORD dst_unused:UNUSED_PAD src0_sel:WORD_1 src1_sel:DWORD
	v_mul_f16_sdwa v20, v25, v8 dst_sel:DWORD dst_unused:UNUSED_PAD src0_sel:WORD_1 src1_sel:DWORD
	v_lshrrev_b32_e32 v21, 16, v5
	v_mul_f16_sdwa v22, v26, v5 dst_sel:DWORD dst_unused:UNUSED_PAD src0_sel:WORD_1 src1_sel:DWORD
	v_lshrrev_b32_e32 v23, 16, v9
	v_lshrrev_b32_e32 v33, 16, v6
	v_mul_f16_sdwa v45, v28, v6 dst_sel:DWORD dst_unused:UNUSED_PAD src0_sel:WORD_1 src1_sel:DWORD
	v_lshrrev_b32_e32 v46, 16, v10
	;; [unrolled: 3-line block ×3, first 2 shown]
	v_mul_f16_sdwa v80, v28, v1 dst_sel:DWORD dst_unused:UNUSED_PAD src0_sel:WORD_1 src1_sel:DWORD
	v_mul_f16_sdwa v34, v30, v9 dst_sel:DWORD dst_unused:UNUSED_PAD src0_sel:WORD_1 src1_sel:DWORD
	;; [unrolled: 1-line block ×3, first 2 shown]
	v_lshrrev_b32_e32 v50, 16, v4
	v_mul_f16_sdwa v51, v30, v4 dst_sel:DWORD dst_unused:UNUSED_PAD src0_sel:WORD_1 src1_sel:DWORD
	v_lshrrev_b32_e32 v52, 16, v12
	v_mul_f16_sdwa v54, v31, v12 dst_sel:DWORD dst_unused:UNUSED_PAD src0_sel:WORD_1 src1_sel:DWORD
	;; [unrolled: 2-line block ×4, first 2 shown]
	v_fma_f16 v15, v27, v15, -v16
	v_fma_f16 v16, v24, v17, -v19
	;; [unrolled: 1-line block ×4, first 2 shown]
	v_mul_f16_sdwa v21, v26, v21 dst_sel:DWORD dst_unused:UNUSED_PAD src0_sel:WORD_1 src1_sel:DWORD
	v_mul_f16_sdwa v22, v30, v23 dst_sel:DWORD dst_unused:UNUSED_PAD src0_sel:WORD_1 src1_sel:DWORD
	;; [unrolled: 1-line block ×4, first 2 shown]
	v_fma_f16 v33, v28, v33, -v45
	v_fma_f16 v45, v29, v47, -v49
	;; [unrolled: 1-line block ×3, first 2 shown]
	v_mul_f16_sdwa v91, v29, v47 dst_sel:DWORD dst_unused:UNUSED_PAD src0_sel:WORD_1 src1_sel:DWORD
	v_mul_f16_sdwa v92, v30, v50 dst_sel:DWORD dst_unused:UNUSED_PAD src0_sel:WORD_1 src1_sel:DWORD
	;; [unrolled: 1-line block ×3, first 2 shown]
	v_fma_f16 v46, v29, v46, -v48
	v_fma_f16 v23, v30, v23, -v34
	;; [unrolled: 1-line block ×4, first 2 shown]
	v_mul_f16_sdwa v50, v28, v56 dst_sel:DWORD dst_unused:UNUSED_PAD src0_sel:WORD_1 src1_sel:DWORD
	v_lshrrev_b32_e32 v82, 16, v3
	v_lshrrev_b32_e32 v83, 16, v0
	v_mul_f16_sdwa v17, v24, v17 dst_sel:DWORD dst_unused:UNUSED_PAD src0_sel:WORD_1 src1_sel:DWORD
	v_mul_f16_sdwa v18, v25, v18 dst_sel:DWORD dst_unused:UNUSED_PAD src0_sel:WORD_1 src1_sel:DWORD
	;; [unrolled: 1-line block ×3, first 2 shown]
	v_fma_f16 v48, v31, v53, -v55
	v_fmac_f16_e32 v21, v26, v5
	v_fmac_f16_e32 v22, v30, v9
	;; [unrolled: 1-line block ×3, first 2 shown]
	v_add_f16_e32 v5, v81, v49
	v_fmac_f16_e32 v85, v28, v6
	v_fmac_f16_e32 v92, v30, v4
	;; [unrolled: 1-line block ×4, first 2 shown]
	v_sub_f16_e32 v1, v49, v46
	v_sub_f16_e32 v4, v34, v23
	v_add_f16_e32 v6, v46, v23
	v_add_f16_e32 v10, v49, v34
	v_fmac_f16_e32 v84, v27, v14
	v_fmac_f16_e32 v17, v24, v7
	;; [unrolled: 1-line block ×5, first 2 shown]
	v_sub_f16_e32 v7, v49, v34
	v_sub_f16_e32 v9, v46, v49
	;; [unrolled: 1-line block ×3, first 2 shown]
	v_add_f16_e32 v12, v82, v33
	v_add_f16_e32 v14, v45, v47
	v_sub_f16_e32 v24, v33, v45
	v_sub_f16_e32 v25, v45, v33
	;; [unrolled: 1-line block ×3, first 2 shown]
	v_add_f16_e32 v27, v33, v48
	v_sub_f16_e32 v28, v48, v47
	v_sub_f16_e32 v29, v47, v48
	;; [unrolled: 1-line block ×4, first 2 shown]
	v_add_f16_e32 v33, v19, v20
	v_add_f16_e32 v49, v16, v15
	;; [unrolled: 1-line block ×3, first 2 shown]
	v_sub_f16_e32 v52, v19, v16
	v_sub_f16_e32 v53, v20, v15
	v_add_f16_e32 v5, v5, v46
	v_add_f16_e32 v56, v90, v22
	v_sub_f16_e32 v8, v46, v23
	v_add_f16_e32 v1, v1, v4
	v_sub_f16_e32 v4, v50, v90
	v_add_f16_e32 v46, v2, v50
	v_fma_f16 v6, -0.5, v6, v81
	v_sub_f16_e32 v80, v50, v93
	v_fmac_f16_e32 v81, -0.5, v10
	v_sub_f16_e32 v10, v90, v50
	v_add_f16_e32 v50, v50, v93
	v_sub_f16_e32 v54, v19, v20
	v_add_f16_e32 v9, v9, v11
	v_add_f16_e32 v11, v12, v45
	v_add_f16_e32 v97, v85, v94
	v_add_f16_e32 v101, v91, v92
	v_add_f16_e32 v24, v24, v28
	v_fma_f16 v14, -0.5, v14, v82
	v_fmac_f16_e32 v82, -0.5, v27
	v_add_f16_e32 v25, v25, v29
	v_add_f16_e32 v27, v30, v31
	v_fma_f16 v28, -0.5, v33, v83
	v_fmac_f16_e32 v83, -0.5, v49
	v_add_f16_e32 v29, v52, v53
	v_sub_f16_e32 v30, v17, v18
	v_sub_f16_e32 v31, v84, v21
	v_add_f16_e32 v33, v18, v21
	v_sub_f16_e32 v53, v18, v17
	v_sub_f16_e32 v103, v21, v84
	;; [unrolled: 3-line block ×3, first 2 shown]
	v_add_f16_e32 v5, v5, v23
	v_fma_f16 v23, -0.5, v56, v2
	v_sub_f16_e32 v95, v90, v22
	v_add_f16_e32 v52, v0, v17
	v_add_f16_e32 v46, v46, v90
	v_fma_f16 v2, -0.5, v50, v2
	v_add_f16_e32 v12, v3, v85
	v_add_f16_e32 v49, v17, v84
	v_sub_f16_e32 v13, v45, v47
	v_sub_f16_e32 v45, v85, v91
	;; [unrolled: 1-line block ×6, first 2 shown]
	v_add_f16_e32 v11, v11, v47
	v_fma_f16 v47, -0.5, v101, v3
	v_fmac_f16_e32 v3, -0.5, v97
	v_add_f16_e32 v30, v30, v31
	v_fma_f16 v31, -0.5, v33, v0
	v_add_f16_e32 v33, v53, v103
	v_add_f16_e32 v19, v19, v20
	v_fmamk_f16 v53, v51, 0xbb9c, v83
	v_fmac_f16_e32 v83, 0x3b9c, v51
	v_add_f16_e32 v4, v4, v55
	v_fmamk_f16 v55, v80, 0x3b9c, v6
	v_add_f16_e32 v5, v5, v34
	v_fmamk_f16 v34, v7, 0xbb9c, v23
	v_sub_f16_e32 v16, v16, v15
	v_sub_f16_e32 v96, v22, v93
	v_fmamk_f16 v56, v95, 0xbb9c, v81
	v_fmac_f16_e32 v81, 0x3b9c, v95
	v_add_f16_e32 v18, v52, v18
	v_add_f16_e32 v22, v46, v22
	v_fmamk_f16 v46, v8, 0x3b9c, v2
	v_fmac_f16_e32 v2, 0xbb9c, v8
	v_fmac_f16_e32 v6, 0xbb9c, v80
	v_add_f16_e32 v12, v12, v91
	v_fmac_f16_e32 v0, -0.5, v49
	v_fmac_f16_e32 v23, 0x3b9c, v7
	v_sub_f16_e32 v99, v94, v92
	v_sub_f16_e32 v100, v92, v94
	v_fmamk_f16 v20, v85, 0x3b9c, v14
	v_fmamk_f16 v49, v102, 0xbb9c, v82
	;; [unrolled: 1-line block ×3, first 2 shown]
	v_fmac_f16_e32 v28, 0xbb9c, v17
	v_add_f16_e32 v15, v19, v15
	v_fmac_f16_e32 v53, 0x38b4, v17
	v_fmac_f16_e32 v83, 0xb8b4, v17
	v_fmamk_f16 v17, v26, 0xbb9c, v47
	v_fmamk_f16 v19, v13, 0x3b9c, v3
	v_fmac_f16_e32 v14, 0xbb9c, v85
	v_fmac_f16_e32 v82, 0x3b9c, v102
	;; [unrolled: 1-line block ×6, first 2 shown]
	v_add_f16_e32 v10, v10, v96
	v_fmac_f16_e32 v56, 0x38b4, v80
	v_fmac_f16_e32 v81, 0xb8b4, v80
	v_add_f16_e32 v18, v18, v21
	v_fmamk_f16 v21, v16, 0xbb9c, v31
	v_fmac_f16_e32 v46, 0xb8b4, v7
	v_fmac_f16_e32 v2, 0x38b4, v7
	;; [unrolled: 1-line block ×3, first 2 shown]
	v_add_f16_e32 v12, v12, v92
	v_add_f16_e32 v11, v11, v48
	v_fmamk_f16 v48, v54, 0x3b9c, v0
	v_fmac_f16_e32 v0, 0xbb9c, v54
	v_fmac_f16_e32 v23, 0x38b4, v8
	;; [unrolled: 1-line block ×3, first 2 shown]
	v_add_f16_e32 v45, v45, v99
	v_add_f16_e32 v50, v98, v100
	v_fmac_f16_e32 v20, 0x38b4, v102
	v_fmac_f16_e32 v49, 0x38b4, v85
	;; [unrolled: 1-line block ×6, first 2 shown]
	v_add_f16_e32 v22, v22, v93
	v_fmac_f16_e32 v55, 0x34f2, v1
	v_fmac_f16_e32 v47, 0x38b4, v13
	;; [unrolled: 1-line block ×11, first 2 shown]
	v_add_f16_e32 v1, v12, v94
	v_fmac_f16_e32 v48, 0xb8b4, v16
	v_fmac_f16_e32 v0, 0x38b4, v16
	;; [unrolled: 1-line block ×11, first 2 shown]
	v_pack_b32_f16 v5, v22, v5
	v_fmac_f16_e32 v47, 0x34f2, v45
	v_fmac_f16_e32 v3, 0x34f2, v50
	v_pack_b32_f16 v4, v34, v55
	v_add_f16_e32 v7, v18, v84
	v_fmac_f16_e32 v52, 0x34f2, v27
	v_fmac_f16_e32 v21, 0x34f2, v30
	v_pack_b32_f16 v8, v46, v56
	v_pack_b32_f16 v2, v2, v81
	v_fmac_f16_e32 v53, 0x34f2, v29
	v_fmac_f16_e32 v83, 0x34f2, v29
	v_pack_b32_f16 v1, v1, v11
	v_fmac_f16_e32 v48, 0x34f2, v33
	v_fmac_f16_e32 v0, 0x34f2, v33
	;; [unrolled: 3-line block ×3, first 2 shown]
	v_pack_b32_f16 v9, v17, v20
	v_pack_b32_f16 v10, v19, v49
	ds_write2_b32 v62, v5, v4 offset1:125
	ds_write2_b32 v79, v8, v2 offset0:122 offset1:247
	ds_write2_b32 v74, v6, v1 offset0:116 offset1:241
	v_pack_b32_f16 v1, v3, v82
	v_pack_b32_f16 v2, v47, v14
	;; [unrolled: 1-line block ×7, first 2 shown]
	ds_write2_b32 v78, v9, v10 offset0:110 offset1:235
	ds_write2_b32 v77, v1, v2 offset0:104 offset1:229
	;; [unrolled: 1-line block ×4, first 2 shown]
	ds_write_b32 v86, v6 offset:7000
	s_waitcnt lgkmcnt(0)
	s_barrier
	buffer_gl0_inv
	ds_read2_b32 v[0:1], v62 offset1:125
	ds_read2_b32 v[2:3], v74 offset0:116 offset1:241
	ds_read2_b32 v[4:5], v69 offset0:98 offset1:223
	;; [unrolled: 1-line block ×6, first 2 shown]
	s_waitcnt lgkmcnt(6)
	v_lshrrev_b32_e32 v14, 16, v0
	s_waitcnt lgkmcnt(5)
	v_lshrrev_b32_e32 v15, 16, v3
	;; [unrolled: 2-line block ×3, first 2 shown]
	v_lshrrev_b32_e32 v18, 16, v5
	v_mul_f16_sdwa v19, v43, v3 dst_sel:DWORD dst_unused:UNUSED_PAD src0_sel:WORD_1 src1_sel:DWORD
	v_mul_f16_sdwa v21, v44, v4 dst_sel:DWORD dst_unused:UNUSED_PAD src0_sel:WORD_1 src1_sel:DWORD
	;; [unrolled: 1-line block ×3, first 2 shown]
	s_waitcnt lgkmcnt(3)
	v_lshrrev_b32_e32 v17, 16, v6
	v_lshrrev_b32_e32 v20, 16, v7
	v_fma_f16 v15, v43, v15, -v19
	v_mul_f16_sdwa v19, v44, v16 dst_sel:DWORD dst_unused:UNUSED_PAD src0_sel:WORD_1 src1_sel:DWORD
	v_fma_f16 v16, v44, v16, -v21
	v_mul_f16_sdwa v21, v42, v18 dst_sel:DWORD dst_unused:UNUSED_PAD src0_sel:WORD_1 src1_sel:DWORD
	v_fmac_f16_e32 v22, v43, v3
	v_mul_f16_sdwa v3, v41, v6 dst_sel:DWORD dst_unused:UNUSED_PAD src0_sel:WORD_1 src1_sel:DWORD
	v_fmac_f16_e32 v19, v44, v4
	;; [unrolled: 2-line block ×3, first 2 shown]
	ds_read_b32 v5, v62 offset:7000
	s_waitcnt lgkmcnt(3)
	v_lshrrev_b32_e32 v23, 16, v8
	v_mul_f16_sdwa v24, v41, v17 dst_sel:DWORD dst_unused:UNUSED_PAD src0_sel:WORD_1 src1_sel:DWORD
	v_fma_f16 v3, v41, v17, -v3
	v_mul_f16_sdwa v17, v39, v20 dst_sel:DWORD dst_unused:UNUSED_PAD src0_sel:WORD_1 src1_sel:DWORD
	s_waitcnt lgkmcnt(2)
	v_lshrrev_b32_e32 v25, 16, v12
	v_mul_f16_sdwa v26, v40, v23 dst_sel:DWORD dst_unused:UNUSED_PAD src0_sel:WORD_1 src1_sel:DWORD
	v_fmac_f16_e32 v24, v41, v6
	v_mul_f16_sdwa v6, v39, v7 dst_sel:DWORD dst_unused:UNUSED_PAD src0_sel:WORD_1 src1_sel:DWORD
	v_fmac_f16_e32 v17, v39, v7
	;; [unrolled: 2-line block ×3, first 2 shown]
	v_mul_f16_sdwa v8, v37, v12 dst_sel:DWORD dst_unused:UNUSED_PAD src0_sel:WORD_1 src1_sel:DWORD
	v_mul_f16_sdwa v28, v37, v25 dst_sel:DWORD dst_unused:UNUSED_PAD src0_sel:WORD_1 src1_sel:DWORD
	v_fma_f16 v4, v42, v18, -v4
	v_fma_f16 v7, v40, v23, -v7
	v_lshrrev_b32_e32 v23, 16, v13
	v_lshrrev_b32_e32 v18, 16, v9
	v_fma_f16 v8, v37, v25, -v8
	v_fmac_f16_e32 v28, v37, v12
	s_waitcnt lgkmcnt(0)
	v_lshrrev_b32_e32 v27, 16, v5
	v_mul_f16_sdwa v25, v35, v23 dst_sel:DWORD dst_unused:UNUSED_PAD src0_sel:WORD_1 src1_sel:DWORD
	v_mul_f16_sdwa v12, v35, v13 dst_sel:DWORD dst_unused:UNUSED_PAD src0_sel:WORD_1 src1_sel:DWORD
	v_fma_f16 v6, v39, v20, -v6
	v_mul_f16_sdwa v20, v38, v18 dst_sel:DWORD dst_unused:UNUSED_PAD src0_sel:WORD_1 src1_sel:DWORD
	v_mul_f16_sdwa v30, v36, v5 dst_sel:DWORD dst_unused:UNUSED_PAD src0_sel:WORD_1 src1_sel:DWORD
	v_fmac_f16_e32 v25, v35, v13
	v_mul_f16_sdwa v13, v36, v27 dst_sel:DWORD dst_unused:UNUSED_PAD src0_sel:WORD_1 src1_sel:DWORD
	v_fma_f16 v12, v35, v23, -v12
	v_add_f16_e32 v23, v22, v19
	v_fmac_f16_e32 v20, v38, v9
	v_mul_f16_sdwa v9, v38, v9 dst_sel:DWORD dst_unused:UNUSED_PAD src0_sel:WORD_1 src1_sel:DWORD
	v_fmac_f16_e32 v13, v36, v5
	v_add_f16_e32 v5, v0, v22
	v_fma_f16 v27, v36, v27, -v30
	v_add_f16_e32 v30, v15, v16
	v_fma_f16 v0, -0.5, v23, v0
	v_sub_f16_e32 v23, v15, v16
	v_add_f16_e32 v15, v14, v15
	v_fma_f16 v9, v38, v18, -v9
	v_lshrrev_b32_e32 v18, 16, v1
	v_add_f16_e32 v5, v5, v19
	v_fmac_f16_e32 v14, -0.5, v30
	v_sub_f16_e32 v19, v22, v19
	v_add_f16_e32 v15, v15, v16
	v_add_f16_e32 v16, v24, v21
	v_fmamk_f16 v22, v23, 0xbaee, v0
	v_fmac_f16_e32 v0, 0x3aee, v23
	v_fmamk_f16 v23, v19, 0x3aee, v14
	v_add_f16_e32 v30, v1, v24
	v_fmac_f16_e32 v14, 0xbaee, v19
	v_add_f16_e32 v19, v3, v4
	v_fmac_f16_e32 v1, -0.5, v16
	v_sub_f16_e32 v16, v3, v4
	v_add_f16_e32 v3, v18, v3
	v_lshrrev_b32_e32 v29, 16, v10
	v_fmac_f16_e32 v18, -0.5, v19
	v_sub_f16_e32 v19, v24, v21
	v_add_f16_e32 v30, v30, v21
	v_add_f16_e32 v3, v3, v4
	;; [unrolled: 1-line block ×3, first 2 shown]
	v_fmamk_f16 v21, v16, 0xbaee, v1
	v_fmac_f16_e32 v1, 0x3aee, v16
	v_fmamk_f16 v16, v19, 0x3aee, v18
	v_fmac_f16_e32 v18, 0xbaee, v19
	v_add_f16_e32 v19, v6, v7
	v_add_f16_e32 v24, v10, v17
	v_fma_f16 v4, -0.5, v4, v10
	v_sub_f16_e32 v10, v6, v7
	v_add_f16_e32 v6, v29, v6
	v_fmac_f16_e32 v29, -0.5, v19
	v_lshrrev_b32_e32 v19, 16, v11
	v_add_f16_e32 v24, v24, v26
	v_sub_f16_e32 v17, v17, v26
	v_fmamk_f16 v26, v10, 0xbaee, v4
	v_fmac_f16_e32 v4, 0x3aee, v10
	v_add_f16_e32 v10, v28, v20
	v_add_f16_e32 v6, v6, v7
	v_fmamk_f16 v7, v17, 0x3aee, v29
	v_fmac_f16_e32 v29, 0xbaee, v17
	v_add_f16_e32 v17, v8, v9
	v_add_f16_e32 v31, v11, v28
	v_fmac_f16_e32 v11, -0.5, v10
	v_sub_f16_e32 v10, v8, v9
	v_add_f16_e32 v8, v19, v8
	v_fmac_f16_e32 v19, -0.5, v17
	v_add_f16_e32 v17, v31, v20
	v_sub_f16_e32 v20, v28, v20
	v_fmamk_f16 v28, v10, 0xbaee, v11
	v_add_f16_e32 v8, v8, v9
	v_add_f16_e32 v9, v25, v13
	v_fmac_f16_e32 v11, 0x3aee, v10
	v_fmamk_f16 v10, v20, 0x3aee, v19
	v_fmac_f16_e32 v19, 0xbaee, v20
	v_lshrrev_b32_e32 v20, 16, v2
	v_add_f16_e32 v31, v12, v27
	v_add_f16_e32 v33, v2, v25
	v_fmac_f16_e32 v2, -0.5, v9
	v_sub_f16_e32 v9, v12, v27
	v_add_f16_e32 v12, v20, v12
	v_fmac_f16_e32 v20, -0.5, v31
	v_add_f16_e32 v31, v33, v13
	v_sub_f16_e32 v13, v25, v13
	v_fmamk_f16 v25, v9, 0xbaee, v2
	v_fmac_f16_e32 v2, 0x3aee, v9
	v_pack_b32_f16 v9, v22, v23
	v_pack_b32_f16 v0, v0, v14
	;; [unrolled: 1-line block ×5, first 2 shown]
	ds_write_b32 v62, v9 offset:2500
	v_pack_b32_f16 v9, v21, v16
	v_pack_b32_f16 v1, v1, v18
	;; [unrolled: 1-line block ×3, first 2 shown]
	v_add_f16_e32 v12, v12, v27
	v_fmamk_f16 v22, v13, 0x3aee, v20
	v_fmac_f16_e32 v20, 0xbaee, v13
	ds_write_b32 v62, v0 offset:5000
	ds_write2_b32 v62, v5, v3 offset1:125
	v_pack_b32_f16 v0, v24, v6
	ds_write2_b32 v78, v9, v7 offset0:110 offset1:235
	ds_write2_b32 v89, v1, v4 offset0:95 offset1:220
	v_pack_b32_f16 v1, v17, v8
	v_pack_b32_f16 v4, v11, v19
	;; [unrolled: 1-line block ×6, first 2 shown]
	ds_write2_b32 v79, v0, v1 offset0:122 offset1:247
	ds_write_b32 v62, v4 offset:6500
	ds_write_b32 v62, v5 offset:2000
	ds_write2_b32 v77, v3, v6 offset0:104 offset1:229
	ds_write_b32 v62, v2 offset:7000
	s_waitcnt lgkmcnt(0)
	s_barrier
	buffer_gl0_inv
	ds_read2_b32 v[3:4], v62 offset1:125
	s_waitcnt lgkmcnt(0)
	v_lshrrev_b32_e32 v2, 16, v3
	v_mul_f16_sdwa v0, v75, v2 dst_sel:DWORD dst_unused:UNUSED_PAD src0_sel:WORD_1 src1_sel:DWORD
	v_fmac_f16_e32 v0, v75, v3
	v_mul_f16_sdwa v3, v75, v3 dst_sel:DWORD dst_unused:UNUSED_PAD src0_sel:WORD_1 src1_sel:DWORD
	v_cvt_f32_f16_e32 v0, v0
	v_fma_f16 v2, v75, v2, -v3
	v_cvt_f64_f32_e32 v[0:1], v0
	v_cvt_f32_f16_e32 v2, v2
	v_cvt_f64_f32_e32 v[5:6], v2
	ds_read2_b32 v[2:3], v79 offset0:122 offset1:247
	v_mul_f64 v[0:1], v[0:1], s[2:3]
	s_waitcnt lgkmcnt(0)
	v_lshrrev_b32_e32 v12, 16, v3
	v_mul_f64 v[7:8], v[5:6], s[2:3]
	v_and_or_b32 v0, 0x1ff, v1, v0
	v_lshrrev_b32_e32 v5, 8, v1
	v_bfe_u32 v9, v1, 20, 11
	v_lshrrev_b32_e32 v25, 16, v1
	v_cmp_ne_u32_e32 vcc_lo, 0, v0
	v_and_or_b32 v6, 0x1ff, v8, v7
	v_lshrrev_b32_e32 v13, 8, v8
	v_bfe_u32 v15, v8, 20, 11
	v_add_nc_u32_e32 v16, 0xfffffc10, v9
	v_cndmask_b32_e64 v0, 0, 1, vcc_lo
	v_cmp_ne_u32_e32 vcc_lo, 0, v6
	v_lshrrev_b32_e32 v8, 16, v8
	v_add_nc_u32_e32 v21, 0xfffffc10, v15
	v_and_or_b32 v14, 0xffe, v5, v0
	v_sub_nc_u32_e32 v0, 0x3f1, v9
	v_mul_f16_sdwa v5, v73, v12 dst_sel:DWORD dst_unused:UNUSED_PAD src0_sel:WORD_1 src1_sel:DWORD
	v_cndmask_b32_e64 v7, 0, 1, vcc_lo
	v_or_b32_e32 v10, 0x1000, v14
	v_med3_i32 v0, v0, 0, 13
	v_fmac_f16_e32 v5, v73, v3
	v_and_or_b32 v17, 0xffe, v13, v7
	v_sub_nc_u32_e32 v7, 0x3f1, v15
	v_mul_f16_sdwa v3, v73, v3 dst_sel:DWORD dst_unused:UNUSED_PAD src0_sel:WORD_1 src1_sel:DWORD
	v_lshrrev_b32_e32 v11, v0, v10
	v_cvt_f32_f16_e32 v5, v5
	v_or_b32_e32 v13, 0x1000, v17
	v_med3_i32 v7, v7, 0, 13
	v_lshlrev_b32_e32 v0, v0, v11
	v_cvt_f64_f32_e32 v[5:6], v5
	v_lshrrev_b32_e32 v19, v7, v13
	v_cmp_ne_u32_e32 vcc_lo, v0, v10
	v_mad_u64_u32 v[9:10], null, s10, v32, 0
	v_lshlrev_b32_e32 v7, v7, v19
	v_cndmask_b32_e64 v0, 0, 1, vcc_lo
	v_cmp_gt_i32_e32 vcc_lo, 1, v16
	v_cmp_ne_u32_e64 s0, v7, v13
	v_lshl_or_b32 v7, v21, 12, v17
	v_or_b32_e32 v0, v11, v0
	v_lshl_or_b32 v11, v16, 12, v14
	v_cndmask_b32_e32 v18, v11, v0, vcc_lo
	v_mov_b32_e32 v0, v10
	v_mul_f64 v[10:11], v[5:6], s[2:3]
	v_and_b32_e32 v20, 7, v18
	v_mad_u64_u32 v[5:6], null, s11, v32, v[0:1]
	v_fma_f16 v0, v73, v12, -v3
	v_cndmask_b32_e64 v3, 0, 1, s0
	v_cmp_lt_i32_e32 vcc_lo, 5, v20
	v_cmp_eq_u32_e64 s0, 3, v20
	v_lshrrev_b32_e32 v6, 2, v18
	v_cvt_f32_f16_e32 v0, v0
	v_or_b32_e32 v3, v19, v3
	s_or_b32 vcc_lo, s0, vcc_lo
	v_cvt_f64_f32_e32 v[12:13], v0
	v_add_co_ci_u32_e32 v0, vcc_lo, 0, v6, vcc_lo
	v_cmp_gt_i32_e32 vcc_lo, 1, v21
	v_and_or_b32 v15, 0x1ff, v11, v10
	v_mov_b32_e32 v10, v5
	v_cndmask_b32_e32 v3, v7, v3, vcc_lo
	v_cmp_ne_u32_e32 vcc_lo, 0, v14
	ds_read2_b32 v[6:7], v78 offset0:110 offset1:235
	v_cmp_ne_u32_e64 s1, 0, v15
	v_bfe_u32 v19, v11, 20, 11
	v_and_b32_e32 v5, 7, v3
	v_cndmask_b32_e64 v14, 0, 1, vcc_lo
	v_cmp_gt_i32_e32 vcc_lo, 31, v16
	v_lshrrev_b32_e32 v3, 2, v3
	v_cmp_eq_u32_e64 s0, 3, v5
	v_lshl_or_b32 v18, v14, 9, 0x7c00
	v_cndmask_b32_e32 v0, 0x7c00, v0, vcc_lo
	v_cmp_lt_i32_e32 vcc_lo, 5, v5
	v_mul_f64 v[12:13], v[12:13], s[2:3]
	v_cndmask_b32_e64 v5, 0, 1, s1
	v_lshrrev_b32_e32 v14, 8, v11
	s_or_b32 vcc_lo, s0, vcc_lo
	v_add_co_ci_u32_e32 v3, vcc_lo, 0, v3, vcc_lo
	v_cmp_ne_u32_e32 vcc_lo, 0, v17
	v_and_or_b32 v20, 0xffe, v14, v5
	v_sub_nc_u32_e32 v17, 0x3f1, v19
	s_waitcnt lgkmcnt(0)
	v_lshrrev_b32_e32 v23, 16, v6
	v_mad_u64_u32 v[14:15], null, s8, v71, 0
	v_cndmask_b32_e64 v5, 0, 1, vcc_lo
	v_cmp_gt_i32_e32 vcc_lo, 31, v21
	v_or_b32_e32 v22, 0x1000, v20
	v_med3_i32 v17, v17, 0, 13
	v_mul_f16_sdwa v24, v72, v23 dst_sel:DWORD dst_unused:UNUSED_PAD src0_sel:WORD_1 src1_sel:DWORD
	v_lshl_or_b32 v5, v5, 9, 0x7c00
	v_cndmask_b32_e32 v3, 0x7c00, v3, vcc_lo
	v_cmp_eq_u32_e32 vcc_lo, 0x40f, v16
	v_lshrrev_b32_e32 v26, v17, v22
	v_fmac_f16_e32 v24, v72, v6
	v_add_nc_u32_e32 v19, 0xfffffc10, v19
	v_mul_f16_sdwa v6, v72, v6 dst_sel:DWORD dst_unused:UNUSED_PAD src0_sel:WORD_1 src1_sel:DWORD
	v_cndmask_b32_e32 v18, v0, v18, vcc_lo
	v_cmp_eq_u32_e32 vcc_lo, 0x40f, v21
	v_mov_b32_e32 v0, v15
	v_lshlrev_b32_e32 v15, v17, v26
	v_fma_f16 v6, v72, v23, -v6
	v_cndmask_b32_e32 v3, v3, v5, vcc_lo
	v_and_or_b32 v5, 0x1ff, v13, v12
	v_cvt_f32_f16_e32 v12, v24
	v_mad_u64_u32 v[0:1], null, s9, v71, v[0:1]
	v_and_or_b32 v3, 0x8000, v8, v3
	v_cmp_ne_u32_e32 vcc_lo, 0, v5
	v_cvt_f64_f32_e32 v[16:17], v12
	v_lshrrev_b32_e32 v5, 8, v13
	v_bfe_u32 v12, v13, 20, 11
	v_cvt_f32_f16_e32 v6, v6
	v_cndmask_b32_e64 v1, 0, 1, vcc_lo
	v_cmp_ne_u32_e32 vcc_lo, v15, v22
	v_lshrrev_b32_e32 v13, 16, v13
	v_and_or_b32 v21, 0xffe, v5, v1
	v_cndmask_b32_e64 v15, 0, 1, vcc_lo
	v_and_or_b32 v5, 0x8000, v25, v18
	v_lshl_or_b32 v18, v19, 12, v20
	v_cmp_gt_i32_e32 vcc_lo, 1, v19
	v_sub_nc_u32_e32 v1, 0x3f1, v12
	v_or_b32_e32 v15, v26, v15
	v_or_b32_e32 v22, 0x1000, v21
	v_and_b32_e32 v5, 0xffff, v5
	v_add_nc_u32_e32 v12, 0xfffffc10, v12
	v_med3_i32 v24, v1, 0, 13
	v_cndmask_b32_e32 v18, v18, v15, vcc_lo
	v_mov_b32_e32 v15, v0
	v_lshlrev_b64 v[0:1], 2, v[9:10]
	v_mul_f64 v[8:9], v[16:17], s[2:3]
	v_lshrrev_b32_e32 v25, v24, v22
	v_and_b32_e32 v10, 7, v18
	v_lshrrev_b32_e32 v16, 2, v18
	v_lshl_or_b32 v3, v3, 16, v5
	v_lshl_or_b32 v18, v12, 12, v21
	v_lshlrev_b32_e32 v5, v24, v25
	v_cmp_lt_i32_e32 vcc_lo, 5, v10
	v_cmp_eq_u32_e64 s0, 3, v10
	v_add_co_u32 v10, s1, s4, v0
	v_add_co_ci_u32_e64 v23, s1, s5, v1, s1
	s_or_b32 vcc_lo, s0, vcc_lo
	v_cmp_ne_u32_e64 s1, v5, v22
	v_add_co_ci_u32_e32 v16, vcc_lo, 0, v16, vcc_lo
	v_cvt_f64_f32_e32 v[5:6], v6
	v_cmp_ne_u32_e32 vcc_lo, 0, v20
	ds_read2_b32 v[0:1], v77 offset0:104 offset1:229
	v_cndmask_b32_e64 v17, 0, 1, s1
	v_lshlrev_b64 v[14:15], 2, v[14:15]
	v_and_or_b32 v8, 0x1ff, v9, v8
	v_cndmask_b32_e64 v20, 0, 1, vcc_lo
	v_cmp_gt_i32_e32 vcc_lo, 31, v19
	v_or_b32_e32 v17, v25, v17
	v_bfe_u32 v26, v9, 20, 11
	v_add_co_u32 v14, s1, v10, v14
	v_cndmask_b32_e32 v22, 0x7c00, v16, vcc_lo
	v_cmp_gt_i32_e32 vcc_lo, 1, v12
	v_lshrrev_b32_e32 v25, 8, v9
	v_lshl_or_b32 v20, v20, 9, 0x7c00
	v_add_co_ci_u32_e64 v15, s1, v23, v15, s1
	v_cndmask_b32_e32 v18, v18, v17, vcc_lo
	v_cmp_ne_u32_e32 vcc_lo, 0, v8
	v_lshrrev_b32_e32 v28, 16, v9
	s_mul_i32 s4, s9, 0x5dc
	s_waitcnt lgkmcnt(0)
	v_lshrrev_b32_e32 v24, 16, v1
	v_and_b32_e32 v27, 7, v18
	v_mul_f64 v[16:17], v[5:6], s[2:3]
	v_sub_nc_u32_e32 v6, 0x3f1, v26
	v_cndmask_b32_e64 v8, 0, 1, vcc_lo
	v_mul_f16_sdwa v5, v70, v24 dst_sel:DWORD dst_unused:UNUSED_PAD src0_sel:WORD_1 src1_sel:DWORD
	v_cmp_lt_i32_e32 vcc_lo, 5, v27
	v_cmp_eq_u32_e64 s0, 3, v27
	v_med3_i32 v27, v6, 0, 13
	v_lshrrev_b32_e32 v6, 2, v18
	v_fmac_f16_e32 v5, v70, v1
	v_and_or_b32 v8, 0xffe, v25, v8
	s_or_b32 vcc_lo, s0, vcc_lo
	v_mul_f16_sdwa v1, v70, v1 dst_sel:DWORD dst_unused:UNUSED_PAD src0_sel:WORD_1 src1_sel:DWORD
	v_add_co_ci_u32_e32 v10, vcc_lo, 0, v6, vcc_lo
	v_cmp_ne_u32_e32 vcc_lo, 0, v21
	v_cvt_f32_f16_e32 v5, v5
	v_or_b32_e32 v25, 0x1000, v8
	v_fma_f16 v1, v70, v24, -v1
	s_mul_hi_u32 s5, s8, 0x5dc
	v_cndmask_b32_e64 v21, 0, 1, vcc_lo
	v_cmp_gt_i32_e32 vcc_lo, 31, v12
	v_cvt_f64_f32_e32 v[5:6], v5
	v_lshrrev_b32_e32 v18, v27, v25
	v_and_or_b32 v16, 0x1ff, v17, v16
	v_lshl_or_b32 v21, v21, 9, 0x7c00
	v_cndmask_b32_e32 v10, 0x7c00, v10, vcc_lo
	v_cmp_eq_u32_e32 vcc_lo, 0x40f, v19
	v_lshlrev_b32_e32 v23, v27, v18
	v_cvt_f32_f16_e32 v1, v1
	s_add_i32 s4, s5, s4
	s_mul_i32 s5, s8, 0x5dc
	v_cndmask_b32_e32 v19, v22, v20, vcc_lo
	v_cmp_eq_u32_e32 vcc_lo, 0x40f, v12
	v_lshrrev_b32_e32 v20, 16, v11
	v_lshrrev_b32_e32 v11, 8, v17
	v_add_nc_u32_e32 v22, 0xfffffc10, v26
	global_store_dword v[14:15], v3, off
	v_cndmask_b32_e32 v12, v10, v21, vcc_lo
	v_cmp_ne_u32_e32 vcc_lo, 0, v16
	v_bfe_u32 v16, v17, 20, 11
	v_and_or_b32 v19, 0x8000, v20, v19
	v_cndmask_b32_e64 v10, 0, 1, vcc_lo
	v_cmp_ne_u32_e32 vcc_lo, v23, v25
	v_sub_nc_u32_e32 v25, 0x3f1, v16
	v_and_b32_e32 v19, 0xffff, v19
	v_add_nc_u32_e32 v16, 0xfffffc10, v16
	v_and_or_b32 v23, 0xffe, v11, v10
	v_cndmask_b32_e64 v21, 0, 1, vcc_lo
	v_mul_f64 v[10:11], v[5:6], s[2:3]
	v_lshl_or_b32 v6, v22, 12, v8
	v_cmp_gt_i32_e32 vcc_lo, 1, v22
	v_or_b32_e32 v5, v18, v21
	v_or_b32_e32 v18, 0x1000, v23
	v_med3_i32 v21, v25, 0, 13
	v_cndmask_b32_e32 v5, v6, v5, vcc_lo
	v_and_or_b32 v6, 0x8000, v13, v12
	v_lshrrev_b32_e32 v20, v21, v18
	v_cvt_f64_f32_e32 v[12:13], v1
	v_and_b32_e32 v24, 7, v5
	v_lshrrev_b32_e32 v5, 2, v5
	v_lshlrev_b32_e32 v21, v21, v20
	v_lshl_or_b32 v1, v6, 16, v19
	v_cmp_lt_i32_e32 vcc_lo, 5, v24
	v_cmp_eq_u32_e64 s0, 3, v24
	v_cmp_ne_u32_e64 s1, v21, v18
	v_and_or_b32 v6, 0x1ff, v11, v10
	v_lshrrev_b32_e32 v21, 8, v11
	v_bfe_u32 v24, v11, 20, 11
	s_or_b32 vcc_lo, s0, vcc_lo
	v_cndmask_b32_e64 v10, 0, 1, s1
	v_add_co_ci_u32_e32 v18, vcc_lo, 0, v5, vcc_lo
	v_cmp_ne_u32_e32 vcc_lo, 0, v6
	ds_read2_b32 v[5:6], v76 offset0:92 offset1:217
	v_or_b32_e32 v10, v20, v10
	v_lshl_or_b32 v20, v16, 12, v23
	v_cndmask_b32_e64 v19, 0, 1, vcc_lo
	v_cmp_ne_u32_e32 vcc_lo, 0, v8
	v_mul_f64 v[12:13], v[12:13], s[2:3]
	v_and_or_b32 v21, 0xffe, v21, v19
	v_cndmask_b32_e64 v8, 0, 1, vcc_lo
	v_cmp_gt_i32_e32 vcc_lo, 1, v16
	v_sub_nc_u32_e32 v19, 0x3f1, v24
	v_lshl_or_b32 v8, v8, 9, 0x7c00
	v_cndmask_b32_e32 v10, v20, v10, vcc_lo
	v_cmp_gt_i32_e32 vcc_lo, 31, v22
	v_or_b32_e32 v20, 0x1000, v21
	v_med3_i32 v19, v19, 0, 13
	s_waitcnt lgkmcnt(0)
	v_lshrrev_b32_e32 v27, 16, v5
	v_and_b32_e32 v25, 7, v10
	v_cndmask_b32_e32 v18, 0x7c00, v18, vcc_lo
	v_cmp_eq_u32_e32 vcc_lo, 0x40f, v22
	v_lshrrev_b32_e32 v26, v19, v20
	v_lshrrev_b32_e32 v10, 2, v10
	v_cmp_eq_u32_e64 s0, 3, v25
	v_cndmask_b32_e32 v22, v18, v8, vcc_lo
	v_cmp_lt_i32_e32 vcc_lo, 5, v25
	v_mul_f16_sdwa v8, v68, v27 dst_sel:DWORD dst_unused:UNUSED_PAD src0_sel:WORD_1 src1_sel:DWORD
	v_lshlrev_b32_e32 v9, v19, v26
	v_and_or_b32 v12, 0x1ff, v13, v12
	v_lshrrev_b32_e32 v18, 8, v13
	s_or_b32 vcc_lo, s0, vcc_lo
	v_fmac_f16_e32 v8, v68, v5
	v_add_co_ci_u32_e32 v10, vcc_lo, 0, v10, vcc_lo
	v_cmp_ne_u32_e32 vcc_lo, v9, v20
	v_add_nc_u32_e32 v20, 0xfffffc10, v24
	v_cvt_f32_f16_e32 v8, v8
	v_bfe_u32 v24, v13, 20, 11
	v_mul_f16_sdwa v5, v68, v5 dst_sel:DWORD dst_unused:UNUSED_PAD src0_sel:WORD_1 src1_sel:DWORD
	v_cndmask_b32_e64 v9, 0, 1, vcc_lo
	v_cmp_ne_u32_e32 vcc_lo, 0, v12
	v_lshl_or_b32 v25, v20, 12, v21
	v_lshrrev_b32_e32 v13, 16, v13
	v_fma_f16 v5, v68, v27, -v5
	v_or_b32_e32 v19, v26, v9
	v_cvt_f64_f32_e32 v[8:9], v8
	v_cndmask_b32_e64 v12, 0, 1, vcc_lo
	v_cmp_ne_u32_e32 vcc_lo, 0, v23
	v_cvt_f32_f16_e32 v5, v5
	v_lshrrev_b32_e32 v27, 16, v17
	v_and_or_b32 v22, 0x8000, v28, v22
	v_and_or_b32 v12, 0xffe, v18, v12
	v_cndmask_b32_e64 v23, 0, 1, vcc_lo
	v_cmp_gt_i32_e32 vcc_lo, 1, v20
	v_sub_nc_u32_e32 v18, 0x3f1, v24
	v_add_nc_u32_e32 v24, 0xfffffc10, v24
	v_or_b32_e32 v26, 0x1000, v12
	v_lshl_or_b32 v23, v23, 9, 0x7c00
	v_cndmask_b32_e32 v25, v25, v19, vcc_lo
	v_cmp_gt_i32_e32 vcc_lo, 31, v16
	v_med3_i32 v29, v18, 0, 13
	v_and_b32_e32 v22, 0xffff, v22
	v_and_b32_e32 v30, 7, v25
	v_cndmask_b32_e32 v10, 0x7c00, v10, vcc_lo
	v_add_co_u32 v18, vcc_lo, v14, s5
	v_add_co_ci_u32_e32 v19, vcc_lo, s4, v15, vcc_lo
	v_lshrrev_b32_e32 v31, v29, v26
	v_cmp_eq_u32_e32 vcc_lo, 0x40f, v16
	v_mul_f64 v[8:9], v[8:9], s[2:3]
	v_cvt_f64_f32_e32 v[16:17], v5
	v_cmp_eq_u32_e64 s0, 3, v30
	v_lshrrev_b32_e32 v5, 2, v25
	v_cndmask_b32_e32 v10, v10, v23, vcc_lo
	v_lshlrev_b32_e32 v23, v29, v31
	v_cmp_lt_i32_e32 vcc_lo, 5, v30
	v_lshl_or_b32 v25, v24, 12, v12
	v_lshrrev_b32_e32 v15, 16, v4
	global_store_dword v[18:19], v1, off
	v_cmp_ne_u32_e64 s1, v23, v26
	s_or_b32 vcc_lo, s0, vcc_lo
	v_and_or_b32 v26, 0x8000, v27, v10
	v_add_co_ci_u32_e32 v5, vcc_lo, 0, v5, vcc_lo
	v_cndmask_b32_e64 v23, 0, 1, s1
	v_cmp_ne_u32_e32 vcc_lo, 0, v21
	v_lshl_or_b32 v22, v26, 16, v22
	v_or_b32_e32 v23, v31, v23
	v_cndmask_b32_e64 v21, 0, 1, vcc_lo
	v_cmp_gt_i32_e32 vcc_lo, 1, v24
	v_and_or_b32 v8, 0x1ff, v9, v8
	v_mul_f64 v[16:17], v[16:17], s[2:3]
	v_bfe_u32 v14, v9, 20, 11
	v_lshl_or_b32 v21, v21, 9, 0x7c00
	v_cndmask_b32_e32 v10, v25, v23, vcc_lo
	v_cmp_gt_i32_e32 vcc_lo, 31, v20
	v_cmp_ne_u32_e64 s1, 0, v8
	v_lshrrev_b32_e32 v8, 8, v9
	v_and_b32_e32 v23, 7, v10
	v_cndmask_b32_e32 v5, 0x7c00, v5, vcc_lo
	v_cmp_eq_u32_e32 vcc_lo, 0x40f, v20
	v_cndmask_b32_e64 v3, 0, 1, s1
	v_lshrrev_b32_e32 v1, 2, v10
	v_cmp_eq_u32_e64 s0, 3, v23
	v_mul_f16_sdwa v10, v67, v15 dst_sel:DWORD dst_unused:UNUSED_PAD src0_sel:WORD_1 src1_sel:DWORD
	v_cndmask_b32_e32 v5, v5, v21, vcc_lo
	v_cmp_lt_i32_e32 vcc_lo, 5, v23
	v_and_or_b32 v3, 0xffe, v8, v3
	v_sub_nc_u32_e32 v8, 0x3f1, v14
	v_fmac_f16_e32 v10, v67, v4
	v_lshrrev_b32_e32 v20, 16, v11
	s_or_b32 vcc_lo, s0, vcc_lo
	v_or_b32_e32 v21, 0x1000, v3
	v_add_co_ci_u32_e32 v1, vcc_lo, 0, v1, vcc_lo
	v_med3_i32 v8, v8, 0, 13
	v_cmp_ne_u32_e32 vcc_lo, 0, v12
	v_and_or_b32 v11, 0x1ff, v17, v16
	v_cvt_f32_f16_e32 v10, v10
	v_lshrrev_b32_e32 v25, 8, v17
	v_lshrrev_b32_e32 v16, v8, v21
	v_cndmask_b32_e64 v12, 0, 1, vcc_lo
	v_cmp_gt_i32_e32 vcc_lo, 31, v24
	v_bfe_u32 v27, v17, 20, 11
	v_and_or_b32 v5, 0x8000, v20, v5
	v_lshlrev_b32_e32 v8, v8, v16
	v_lshl_or_b32 v12, v12, 9, 0x7c00
	v_cndmask_b32_e32 v1, 0x7c00, v1, vcc_lo
	v_cmp_ne_u32_e32 vcc_lo, 0, v11
	v_cvt_f64_f32_e32 v[10:11], v10
	v_mul_f16_sdwa v4, v67, v4 dst_sel:DWORD dst_unused:UNUSED_PAD src0_sel:WORD_1 src1_sel:DWORD
	v_cndmask_b32_e64 v23, 0, 1, vcc_lo
	v_cmp_ne_u32_e32 vcc_lo, v8, v21
	v_add_nc_u32_e32 v21, 0xfffffc10, v14
	v_sub_nc_u32_e32 v14, 0x3f1, v27
	v_fma_f16 v4, v67, v15, -v4
	v_and_or_b32 v20, 0xffe, v25, v23
	v_cndmask_b32_e64 v8, 0, 1, vcc_lo
	v_cmp_eq_u32_e32 vcc_lo, 0x40f, v24
	v_med3_i32 v14, v14, 0, 13
	v_cvt_f32_f16_e32 v4, v4
	v_and_b32_e32 v24, 0xffff, v5
	v_or_b32_e32 v8, v16, v8
	v_or_b32_e32 v16, 0x1000, v20
	v_cndmask_b32_e32 v1, v1, v12, vcc_lo
	v_lshl_or_b32 v12, v21, 12, v3
	v_cmp_gt_i32_e32 vcc_lo, 1, v21
	v_lshrrev_b32_e32 v23, v14, v16
	v_mul_f64 v[10:11], v[10:11], s[2:3]
	v_and_or_b32 v1, 0x8000, v13, v1
	v_cndmask_b32_e32 v8, v12, v8, vcc_lo
	v_lshlrev_b32_e32 v14, v14, v23
	v_lshl_or_b32 v1, v1, 16, v24
	v_and_b32_e32 v12, 7, v8
	v_cmp_ne_u32_e64 s0, v14, v16
	v_add_co_u32 v14, s1, v18, s5
	v_cmp_lt_i32_e32 vcc_lo, 5, v12
	v_add_co_ci_u32_e64 v15, s1, s4, v19, s1
	v_cndmask_b32_e64 v5, 0, 1, s0
	v_cmp_eq_u32_e64 s0, 3, v12
	v_cvt_f64_f32_e32 v[12:13], v4
	v_lshrrev_b32_e32 v4, 2, v8
	v_add_nc_u32_e32 v16, 0xfffffc10, v27
	v_or_b32_e32 v8, v23, v5
	s_or_b32 vcc_lo, s0, vcc_lo
	v_and_or_b32 v10, 0x1ff, v11, v10
	v_add_co_ci_u32_e32 v19, vcc_lo, 0, v4, vcc_lo
	v_cmp_ne_u32_e32 vcc_lo, 0, v3
	v_lshl_or_b32 v18, v16, 12, v20
	ds_read2_b32 v[4:5], v74 offset0:116 offset1:241
	v_bfe_u32 v23, v11, 20, 11
	global_store_dword v[14:15], v22, off
	v_cndmask_b32_e64 v3, 0, 1, vcc_lo
	v_cmp_gt_i32_e32 vcc_lo, 1, v16
	v_lshl_or_b32 v3, v3, 9, 0x7c00
	v_cndmask_b32_e32 v8, v18, v8, vcc_lo
	v_cmp_ne_u32_e32 vcc_lo, 0, v10
	v_lshrrev_b32_e32 v18, 8, v11
	v_mul_f64 v[12:13], v[12:13], s[2:3]
	v_lshrrev_b32_e32 v11, 16, v11
	v_and_b32_e32 v24, 7, v8
	v_cndmask_b32_e64 v10, 0, 1, vcc_lo
	v_cmp_gt_i32_e32 vcc_lo, 31, v21
	v_lshrrev_b32_e32 v8, 2, v8
	v_cmp_eq_u32_e64 s0, 3, v24
	v_and_or_b32 v10, 0xffe, v18, v10
	v_cndmask_b32_e32 v19, 0x7c00, v19, vcc_lo
	v_cmp_eq_u32_e32 vcc_lo, 0x40f, v21
	v_sub_nc_u32_e32 v18, 0x3f1, v23
	s_waitcnt lgkmcnt(0)
	v_lshrrev_b32_e32 v21, 16, v4
	v_cndmask_b32_e32 v3, v19, v3, vcc_lo
	v_cmp_lt_i32_e32 vcc_lo, 5, v24
	v_or_b32_e32 v19, 0x1000, v10
	v_med3_i32 v18, v18, 0, 13
	v_lshrrev_b32_e32 v24, 16, v9
	v_mul_f16_sdwa v9, v66, v21 dst_sel:DWORD dst_unused:UNUSED_PAD src0_sel:WORD_1 src1_sel:DWORD
	s_or_b32 vcc_lo, s0, vcc_lo
	v_and_or_b32 v12, 0x1ff, v13, v12
	v_add_co_ci_u32_e32 v8, vcc_lo, 0, v8, vcc_lo
	v_lshrrev_b32_e32 v25, v18, v19
	v_cmp_ne_u32_e32 vcc_lo, 0, v20
	v_fmac_f16_e32 v9, v66, v4
	v_bfe_u32 v27, v13, 20, 11
	v_mul_f16_sdwa v4, v66, v4 dst_sel:DWORD dst_unused:UNUSED_PAD src0_sel:WORD_1 src1_sel:DWORD
	v_lshlrev_b32_e32 v18, v18, v25
	v_cndmask_b32_e64 v20, 0, 1, vcc_lo
	v_cmp_gt_i32_e32 vcc_lo, 31, v16
	v_cvt_f32_f16_e32 v9, v9
	v_and_or_b32 v3, 0x8000, v24, v3
	v_fma_f16 v4, v66, v21, -v4
	v_lshl_or_b32 v20, v20, 9, 0x7c00
	v_cndmask_b32_e32 v26, 0x7c00, v8, vcc_lo
	v_cmp_ne_u32_e32 vcc_lo, v18, v19
	v_cvt_f64_f32_e32 v[8:9], v9
	v_add_nc_u32_e32 v19, 0xfffffc10, v23
	v_lshrrev_b32_e32 v23, 8, v13
	v_and_b32_e32 v21, 0xffff, v3
	v_cndmask_b32_e64 v18, 0, 1, vcc_lo
	v_cmp_ne_u32_e32 vcc_lo, 0, v12
	v_cvt_f32_f16_e32 v3, v4
	v_lshrrev_b32_e32 v13, 16, v13
	v_or_b32_e32 v18, v25, v18
	v_cndmask_b32_e64 v12, 0, 1, vcc_lo
	v_cmp_eq_u32_e32 vcc_lo, 0x40f, v16
	v_lshl_or_b32 v25, v19, 12, v10
	v_cvt_f64_f32_e32 v[3:4], v3
	v_and_or_b32 v12, 0xffe, v23, v12
	v_cndmask_b32_e32 v20, v26, v20, vcc_lo
	v_cmp_gt_i32_e32 vcc_lo, 1, v19
	v_sub_nc_u32_e32 v23, 0x3f1, v27
	v_lshrrev_b32_e32 v26, 16, v17
	v_or_b32_e32 v28, 0x1000, v12
	v_cndmask_b32_e32 v18, v25, v18, vcc_lo
	v_med3_i32 v23, v23, 0, 13
	v_add_co_u32 v16, vcc_lo, v14, s5
	v_add_co_ci_u32_e32 v17, vcc_lo, s4, v15, vcc_lo
	v_and_b32_e32 v25, 7, v18
	v_lshrrev_b32_e32 v24, v23, v28
	v_mul_f64 v[8:9], v[8:9], s[2:3]
	v_lshrrev_b32_e32 v14, 2, v18
	v_add_nc_u32_e32 v18, 0xfffffc10, v27
	v_cmp_lt_i32_e32 vcc_lo, 5, v25
	v_cmp_eq_u32_e64 s0, 3, v25
	v_lshlrev_b32_e32 v23, v23, v24
	v_and_or_b32 v20, 0x8000, v26, v20
	v_lshl_or_b32 v22, v18, 12, v12
	global_store_dword v[16:17], v1, off
	s_or_b32 vcc_lo, s0, vcc_lo
	v_cmp_ne_u32_e64 s1, v23, v28
	v_add_co_ci_u32_e32 v14, vcc_lo, 0, v14, vcc_lo
	v_cmp_ne_u32_e32 vcc_lo, 0, v10
	v_lshl_or_b32 v1, v20, 16, v21
	v_cndmask_b32_e64 v15, 0, 1, s1
	v_lshrrev_b32_e32 v21, 16, v7
	v_cndmask_b32_e64 v10, 0, 1, vcc_lo
	v_cmp_gt_i32_e32 vcc_lo, 31, v19
	v_or_b32_e32 v15, v24, v15
	v_and_or_b32 v8, 0x1ff, v9, v8
	v_lshl_or_b32 v10, v10, 9, 0x7c00
	v_cndmask_b32_e32 v14, 0x7c00, v14, vcc_lo
	v_cmp_gt_i32_e32 vcc_lo, 1, v18
	v_lshrrev_b32_e32 v20, 8, v9
	v_bfe_u32 v23, v9, 20, 11
	v_lshrrev_b32_e32 v9, 16, v9
	v_cndmask_b32_e32 v22, v22, v15, vcc_lo
	v_cmp_eq_u32_e32 vcc_lo, 0x40f, v19
	v_and_b32_e32 v19, 7, v22
	v_cndmask_b32_e32 v10, v14, v10, vcc_lo
	v_cmp_ne_u32_e32 vcc_lo, 0, v8
	v_mul_f64 v[14:15], v[3:4], s[2:3]
	v_mul_f16_sdwa v3, v65, v21 dst_sel:DWORD dst_unused:UNUSED_PAD src0_sel:WORD_1 src1_sel:DWORD
	v_cmp_eq_u32_e64 s0, 3, v19
	v_sub_nc_u32_e32 v4, 0x3f1, v23
	v_cndmask_b32_e64 v8, 0, 1, vcc_lo
	v_cmp_lt_i32_e32 vcc_lo, 5, v19
	v_fmac_f16_e32 v3, v65, v7
	v_and_or_b32 v10, 0x8000, v11, v10
	v_and_or_b32 v20, 0xffe, v20, v8
	v_lshrrev_b32_e32 v8, 2, v22
	s_or_b32 vcc_lo, s0, vcc_lo
	v_cvt_f32_f16_e32 v3, v3
	v_med3_i32 v22, v4, 0, 13
	v_or_b32_e32 v19, 0x1000, v20
	v_add_co_ci_u32_e32 v8, vcc_lo, 0, v8, vcc_lo
	v_cmp_ne_u32_e32 vcc_lo, 0, v12
	v_cvt_f64_f32_e32 v[3:4], v3
	v_lshrrev_b32_e32 v24, v22, v19
	v_cndmask_b32_e64 v12, 0, 1, vcc_lo
	v_cmp_gt_i32_e32 vcc_lo, 31, v18
	v_lshlrev_b32_e32 v22, v22, v24
	v_and_or_b32 v14, 0x1ff, v15, v14
	v_lshl_or_b32 v12, v12, 9, 0x7c00
	v_cndmask_b32_e32 v8, 0x7c00, v8, vcc_lo
	v_cmp_eq_u32_e32 vcc_lo, 0x40f, v18
	v_bfe_u32 v18, v15, 20, 11
	v_cndmask_b32_e32 v11, v8, v12, vcc_lo
	v_cmp_ne_u32_e32 vcc_lo, v22, v19
	v_add_nc_u32_e32 v19, 0xfffffc10, v23
	v_cndmask_b32_e64 v8, 0, 1, vcc_lo
	v_cmp_ne_u32_e32 vcc_lo, 0, v14
	v_lshrrev_b32_e32 v14, 8, v15
	v_lshl_or_b32 v23, v19, 12, v20
	v_or_b32_e32 v22, v24, v8
	v_mul_f16_sdwa v24, v65, v7 dst_sel:DWORD dst_unused:UNUSED_PAD src0_sel:WORD_1 src1_sel:DWORD
	v_mul_f64 v[7:8], v[3:4], s[2:3]
	v_cndmask_b32_e64 v12, 0, 1, vcc_lo
	v_cmp_gt_i32_e32 vcc_lo, 1, v19
	v_fma_f16 v21, v65, v21, -v24
	v_and_or_b32 v14, 0xffe, v14, v12
	v_sub_nc_u32_e32 v12, 0x3f1, v18
	v_cndmask_b32_e32 v22, v23, v22, vcc_lo
	v_or_b32_e32 v3, 0x1000, v14
	v_med3_i32 v4, v12, 0, 13
	v_and_b32_e32 v24, 7, v22
	v_and_or_b32 v12, 0x8000, v13, v11
	v_and_b32_e32 v13, 0xffff, v10
	v_add_co_u32 v10, vcc_lo, v16, s5
	v_cvt_f32_f16_e32 v16, v21
	v_lshrrev_b32_e32 v23, v4, v3
	v_add_co_ci_u32_e32 v11, vcc_lo, s4, v17, vcc_lo
	v_cmp_lt_i32_e32 vcc_lo, 5, v24
	v_cmp_eq_u32_e64 s0, 3, v24
	v_lshl_or_b32 v25, v12, 16, v13
	v_cvt_f64_f32_e32 v[12:13], v16
	v_lshrrev_b32_e32 v21, 2, v22
	v_lshlrev_b32_e32 v4, v4, v23
	v_and_or_b32 v7, 0x1ff, v8, v7
	s_or_b32 vcc_lo, s0, vcc_lo
	v_add_nc_u32_e32 v22, 0xfffffc10, v18
	v_add_co_ci_u32_e32 v21, vcc_lo, 0, v21, vcc_lo
	v_cmp_ne_u32_e64 s1, v4, v3
	v_cmp_ne_u32_e32 vcc_lo, 0, v7
	v_bfe_u32 v24, v8, 20, 11
	v_lshl_or_b32 v26, v22, 12, v14
	s_mul_i32 s0, s9, 0xffffea84
	v_cndmask_b32_e64 v3, 0, 1, s1
	v_cndmask_b32_e64 v7, 0, 1, vcc_lo
	v_cmp_ne_u32_e32 vcc_lo, 0, v20
	s_sub_i32 s6, s0, s8
	v_mad_u64_u32 v[16:17], null, 0xffffea84, s8, v[10:11]
	v_or_b32_e32 v18, v23, v3
	ds_read2_b32 v[3:4], v69 offset0:98 offset1:223
	v_cndmask_b32_e64 v20, 0, 1, vcc_lo
	v_cmp_gt_i32_e32 vcc_lo, 31, v19
	v_lshrrev_b32_e32 v23, 8, v8
	v_mul_f64 v[12:13], v[12:13], s[2:3]
	v_lshrrev_b32_e32 v8, 16, v8
	v_lshl_or_b32 v20, v20, 9, 0x7c00
	v_cndmask_b32_e32 v21, 0x7c00, v21, vcc_lo
	v_cmp_gt_i32_e32 vcc_lo, 1, v22
	v_and_or_b32 v7, 0xffe, v23, v7
	v_sub_nc_u32_e32 v23, 0x3f1, v24
	v_add_nc_u32_e32 v24, 0xfffffc10, v24
	v_add_nc_u32_e32 v17, s6, v17
	v_cndmask_b32_e32 v18, v26, v18, vcc_lo
	v_or_b32_e32 v26, 0x1000, v7
	v_med3_i32 v23, v23, 0, 13
	v_cmp_eq_u32_e32 vcc_lo, 0x40f, v19
	global_store_dword v[10:11], v1, off
	global_store_dword v[16:17], v25, off
	v_and_b32_e32 v27, 7, v18
	v_lshrrev_b32_e32 v18, 2, v18
	v_lshrrev_b32_e32 v28, v23, v26
	s_waitcnt lgkmcnt(0)
	v_lshrrev_b32_e32 v29, 16, v3
	v_cndmask_b32_e32 v20, v21, v20, vcc_lo
	v_cmp_lt_i32_e32 vcc_lo, 5, v27
	v_cmp_eq_u32_e64 s0, 3, v27
	v_lshlrev_b32_e32 v21, v23, v28
	v_mul_f16_sdwa v19, v64, v29 dst_sel:DWORD dst_unused:UNUSED_PAD src0_sel:WORD_1 src1_sel:DWORD
	v_and_or_b32 v12, 0x1ff, v13, v12
	v_and_or_b32 v9, 0x8000, v9, v20
	s_or_b32 vcc_lo, s0, vcc_lo
	v_add_co_ci_u32_e32 v23, vcc_lo, 0, v18, vcc_lo
	v_cmp_ne_u32_e32 vcc_lo, v21, v26
	v_fmac_f16_e32 v19, v64, v3
	v_lshrrev_b32_e32 v21, 8, v13
	v_bfe_u32 v26, v13, 20, 11
	v_mul_f16_sdwa v3, v64, v3 dst_sel:DWORD dst_unused:UNUSED_PAD src0_sel:WORD_1 src1_sel:DWORD
	v_cndmask_b32_e64 v18, 0, 1, vcc_lo
	v_cmp_ne_u32_e32 vcc_lo, 0, v12
	v_cvt_f32_f16_e32 v19, v19
	v_and_b32_e32 v9, 0xffff, v9
	v_fma_f16 v3, v64, v29, -v3
	v_or_b32_e32 v27, v28, v18
	v_cndmask_b32_e64 v12, 0, 1, vcc_lo
	v_cmp_ne_u32_e32 vcc_lo, 0, v14
	v_cvt_f64_f32_e32 v[18:19], v19
	v_lshl_or_b32 v28, v24, 12, v7
	v_cvt_f32_f16_e32 v3, v3
	v_and_or_b32 v12, 0xffe, v21, v12
	v_cndmask_b32_e64 v14, 0, 1, vcc_lo
	v_cmp_gt_i32_e32 vcc_lo, 1, v24
	v_sub_nc_u32_e32 v21, 0x3f1, v26
	v_lshl_or_b32 v14, v14, 9, 0x7c00
	v_cndmask_b32_e32 v27, v28, v27, vcc_lo
	v_cmp_gt_i32_e32 vcc_lo, 31, v22
	v_or_b32_e32 v28, 0x1000, v12
	v_med3_i32 v21, v21, 0, 13
	v_and_b32_e32 v29, 7, v27
	v_cndmask_b32_e32 v23, 0x7c00, v23, vcc_lo
	v_cmp_eq_u32_e32 vcc_lo, 0x40f, v22
	v_lshrrev_b32_e32 v30, v21, v28
	v_cmp_eq_u32_e64 s0, 3, v29
	v_cndmask_b32_e32 v14, v23, v14, vcc_lo
	v_cmp_lt_i32_e32 vcc_lo, 5, v29
	v_lshlrev_b32_e32 v22, v21, v30
	v_cvt_f64_f32_e32 v[20:21], v3
	v_lshrrev_b32_e32 v3, 16, v15
	v_lshrrev_b32_e32 v15, 2, v27
	v_mul_f64 v[18:19], v[18:19], s[2:3]
	s_or_b32 vcc_lo, s0, vcc_lo
	v_cmp_ne_u32_e64 s1, v22, v28
	v_add_nc_u32_e32 v23, 0xfffffc10, v26
	v_add_co_ci_u32_e32 v15, vcc_lo, 0, v15, vcc_lo
	v_cmp_ne_u32_e32 vcc_lo, 0, v7
	v_cndmask_b32_e64 v22, 0, 1, s1
	v_lshl_or_b32 v26, v23, 12, v12
	v_and_or_b32 v3, 0x8000, v3, v14
	v_cndmask_b32_e64 v7, 0, 1, vcc_lo
	v_cmp_gt_i32_e32 vcc_lo, 31, v24
	v_or_b32_e32 v22, v30, v22
	v_lshl_or_b32 v3, v3, 16, v9
	v_mul_f16_sdwa v9, v63, v6 dst_sel:DWORD dst_unused:UNUSED_PAD src0_sel:WORD_1 src1_sel:DWORD
	v_lshl_or_b32 v7, v7, 9, 0x7c00
	v_cndmask_b32_e32 v27, 0x7c00, v15, vcc_lo
	v_cmp_gt_i32_e32 vcc_lo, 1, v23
	v_mul_f64 v[14:15], v[20:21], s[2:3]
	v_and_or_b32 v18, 0x1ff, v19, v18
	v_cndmask_b32_e32 v22, v26, v22, vcc_lo
	v_cmp_eq_u32_e32 vcc_lo, 0x40f, v24
	v_lshrrev_b32_e32 v10, 8, v19
	v_bfe_u32 v11, v19, 20, 11
	v_cmp_ne_u32_e64 s1, 0, v18
	v_and_b32_e32 v26, 7, v22
	v_cndmask_b32_e32 v7, v27, v7, vcc_lo
	v_lshrrev_b32_e32 v18, 16, v6
	v_lshrrev_b32_e32 v19, 16, v19
	v_cndmask_b32_e64 v1, 0, 1, s1
	v_cmp_lt_i32_e32 vcc_lo, 5, v26
	v_cmp_eq_u32_e64 s0, 3, v26
	v_and_or_b32 v20, 0x8000, v8, v7
	v_lshrrev_b32_e32 v7, 2, v22
	v_and_or_b32 v1, 0xffe, v10, v1
	v_sub_nc_u32_e32 v8, 0x3f1, v11
	s_or_b32 vcc_lo, s0, vcc_lo
	v_mul_f16_sdwa v10, v63, v18 dst_sel:DWORD dst_unused:UNUSED_PAD src0_sel:WORD_1 src1_sel:DWORD
	v_add_co_ci_u32_e32 v7, vcc_lo, 0, v7, vcc_lo
	v_cmp_ne_u32_e32 vcc_lo, 0, v12
	v_or_b32_e32 v21, 0x1000, v1
	v_med3_i32 v22, v8, 0, 13
	v_and_or_b32 v8, 0x1ff, v15, v14
	v_fmac_f16_e32 v10, v63, v6
	v_cndmask_b32_e64 v12, 0, 1, vcc_lo
	v_cmp_gt_i32_e32 vcc_lo, 31, v23
	v_lshrrev_b32_e32 v14, v22, v21
	v_lshrrev_b32_e32 v25, 8, v15
	v_bfe_u32 v26, v15, 20, 11
	v_and_b32_e32 v20, 0xffff, v20
	v_cndmask_b32_e32 v24, 0x7c00, v7, vcc_lo
	v_cmp_ne_u32_e32 vcc_lo, 0, v8
	v_cvt_f32_f16_e32 v7, v10
	v_lshl_or_b32 v10, v12, 9, 0x7c00
	v_lshlrev_b32_e32 v22, v22, v14
	v_lshrrev_b32_e32 v15, 16, v15
	v_cndmask_b32_e64 v12, 0, 1, vcc_lo
	v_cmp_eq_u32_e32 vcc_lo, 0x40f, v23
	v_cvt_f64_f32_e32 v[7:8], v7
	v_and_or_b32 v23, 0xffe, v25, v12
	v_cndmask_b32_e32 v10, v24, v10, vcc_lo
	v_sub_nc_u32_e32 v12, 0x3f1, v26
	v_cmp_ne_u32_e32 vcc_lo, v22, v21
	v_add_nc_u32_e32 v22, 0xfffffc10, v11
	v_lshrrev_b32_e32 v11, 16, v13
	v_or_b32_e32 v13, 0x1000, v23
	v_med3_i32 v12, v12, 0, 13
	v_cndmask_b32_e64 v21, 0, 1, vcc_lo
	v_cmp_gt_i32_e32 vcc_lo, 1, v22
	v_and_or_b32 v24, 0x8000, v11, v10
	v_fma_f16 v11, v63, v18, -v9
	v_lshrrev_b32_e32 v25, v12, v13
	v_or_b32_e32 v14, v14, v21
	v_lshl_or_b32 v21, v22, 12, v1
	v_add_nc_u32_e32 v18, 0xfffffc10, v26
	v_cvt_f32_f16_e32 v11, v11
	v_lshlrev_b32_e32 v10, v12, v25
	v_lshl_or_b32 v20, v24, 16, v20
	v_cndmask_b32_e32 v14, v21, v14, vcc_lo
	v_mul_f64 v[6:7], v[7:8], s[2:3]
	v_add_co_u32 v8, vcc_lo, v16, s5
	v_cmp_ne_u32_e64 s0, v10, v13
	v_and_b32_e32 v12, 7, v14
	v_add_co_ci_u32_e32 v9, vcc_lo, s4, v17, vcc_lo
	v_cvt_f64_f32_e32 v[10:11], v11
	v_cndmask_b32_e64 v13, 0, 1, s0
	v_cmp_lt_i32_e32 vcc_lo, 5, v12
	v_cmp_eq_u32_e64 s0, 3, v12
	v_lshrrev_b32_e32 v12, 2, v14
	v_lshl_or_b32 v14, v18, 12, v23
	v_or_b32_e32 v13, v25, v13
	v_lshrrev_b32_e32 v25, 16, v2
	s_or_b32 vcc_lo, s0, vcc_lo
	global_store_dword v[8:9], v3, off
	v_add_co_ci_u32_e32 v16, vcc_lo, 0, v12, vcc_lo
	v_cmp_ne_u32_e32 vcc_lo, 0, v1
	v_and_or_b32 v6, 0x1ff, v7, v6
	v_lshrrev_b32_e32 v21, 8, v7
	v_cndmask_b32_e64 v1, 0, 1, vcc_lo
	v_cmp_gt_i32_e32 vcc_lo, 1, v18
	v_bfe_u32 v24, v7, 20, 11
	v_lshrrev_b32_e32 v7, 16, v7
	v_mul_f64 v[10:11], v[10:11], s[2:3]
	v_cndmask_b32_e32 v14, v14, v13, vcc_lo
	v_add_co_u32 v12, vcc_lo, v8, s5
	v_add_co_ci_u32_e32 v13, vcc_lo, s4, v9, vcc_lo
	v_cmp_gt_i32_e32 vcc_lo, 31, v22
	v_lshl_or_b32 v1, v1, 9, 0x7c00
	v_and_b32_e32 v17, 7, v14
	v_lshrrev_b32_e32 v14, 2, v14
	global_store_dword v[12:13], v20, off
	v_cndmask_b32_e32 v16, 0x7c00, v16, vcc_lo
	v_cmp_ne_u32_e32 vcc_lo, 0, v6
	v_cmp_eq_u32_e64 s0, 3, v17
	v_lshrrev_b32_e32 v20, 16, v0
	v_cndmask_b32_e64 v6, 0, 1, vcc_lo
	v_cmp_eq_u32_e32 vcc_lo, 0x40f, v22
	v_and_or_b32 v6, 0xffe, v21, v6
	v_cndmask_b32_e32 v1, v16, v1, vcc_lo
	v_cmp_lt_i32_e32 vcc_lo, 5, v17
	v_mul_f16_sdwa v16, v61, v25 dst_sel:DWORD dst_unused:UNUSED_PAD src0_sel:WORD_1 src1_sel:DWORD
	v_sub_nc_u32_e32 v21, 0x3f1, v24
	v_or_b32_e32 v22, 0x1000, v6
	v_and_or_b32 v10, 0x1ff, v11, v10
	s_or_b32 vcc_lo, s0, vcc_lo
	v_fmac_f16_e32 v16, v61, v2
	v_add_co_ci_u32_e32 v14, vcc_lo, 0, v14, vcc_lo
	v_cmp_ne_u32_e32 vcc_lo, 0, v23
	v_med3_i32 v21, v21, 0, 13
	v_cvt_f32_f16_e32 v16, v16
	v_and_or_b32 v1, 0x8000, v19, v1
	v_lshrrev_b32_e32 v19, 8, v11
	v_cndmask_b32_e64 v23, 0, 1, vcc_lo
	v_cmp_gt_i32_e32 vcc_lo, 31, v18
	v_cvt_f64_f32_e32 v[16:17], v16
	v_lshrrev_b32_e32 v26, v21, v22
	v_bfe_u32 v27, v11, 20, 11
	v_lshl_or_b32 v23, v23, 9, 0x7c00
	v_cndmask_b32_e32 v14, 0x7c00, v14, vcc_lo
	v_cmp_ne_u32_e32 vcc_lo, 0, v10
	v_lshlrev_b32_e32 v21, v21, v26
	v_mul_f16_sdwa v2, v61, v2 dst_sel:DWORD dst_unused:UNUSED_PAD src0_sel:WORD_1 src1_sel:DWORD
	v_and_b32_e32 v1, 0xffff, v1
	v_lshrrev_b32_e32 v11, 16, v11
	v_cndmask_b32_e64 v10, 0, 1, vcc_lo
	v_cmp_eq_u32_e32 vcc_lo, 0x40f, v18
	v_fma_f16 v2, v61, v25, -v2
	v_and_or_b32 v10, 0xffe, v19, v10
	v_cndmask_b32_e32 v14, v14, v23, vcc_lo
	v_cmp_ne_u32_e32 vcc_lo, v21, v22
	v_sub_nc_u32_e32 v19, 0x3f1, v27
	v_add_nc_u32_e32 v21, 0xfffffc10, v24
	v_or_b32_e32 v23, 0x1000, v10
	v_and_or_b32 v24, 0x8000, v15, v14
	v_cndmask_b32_e64 v18, 0, 1, vcc_lo
	v_med3_i32 v19, v19, 0, 13
	v_lshl_or_b32 v22, v21, 12, v6
	v_mul_f64 v[14:15], v[16:17], s[2:3]
	v_cmp_gt_i32_e32 vcc_lo, 1, v21
	v_or_b32_e32 v18, v26, v18
	v_lshrrev_b32_e32 v16, v19, v23
	v_lshl_or_b32 v3, v24, 16, v1
	v_cvt_f32_f16_e32 v9, v2
	v_cndmask_b32_e32 v17, v22, v18, vcc_lo
	v_lshlrev_b32_e32 v8, v19, v16
	v_add_co_u32 v1, vcc_lo, v12, s5
	v_add_co_ci_u32_e32 v2, vcc_lo, s4, v13, vcc_lo
	v_and_b32_e32 v18, 7, v17
	v_cmp_ne_u32_e64 s0, v8, v23
	v_lshrrev_b32_e32 v17, 2, v17
	v_add_nc_u32_e32 v22, 0xfffffc10, v27
	v_cvt_f64_f32_e32 v[8:9], v9
	v_cmp_lt_i32_e32 vcc_lo, 5, v18
	v_cndmask_b32_e64 v19, 0, 1, s0
	v_cmp_eq_u32_e64 s0, 3, v18
	v_lshl_or_b32 v18, v22, 12, v10
	v_and_or_b32 v14, 0x1ff, v15, v14
	v_lshrrev_b32_e32 v23, 16, v5
	v_or_b32_e32 v16, v16, v19
	s_or_b32 vcc_lo, s0, vcc_lo
	v_bfe_u32 v19, v15, 20, 11
	v_add_co_ci_u32_e32 v17, vcc_lo, 0, v17, vcc_lo
	v_cmp_gt_i32_e32 vcc_lo, 1, v22
	v_mul_f16_sdwa v25, v60, v23 dst_sel:DWORD dst_unused:UNUSED_PAD src0_sel:WORD_1 src1_sel:DWORD
	global_store_dword v[1:2], v3, off
	v_mul_f16_sdwa v3, v60, v5 dst_sel:DWORD dst_unused:UNUSED_PAD src0_sel:WORD_1 src1_sel:DWORD
	v_cndmask_b32_e32 v16, v18, v16, vcc_lo
	v_cmp_ne_u32_e32 vcc_lo, 0, v14
	v_lshrrev_b32_e32 v18, 8, v15
	v_fmac_f16_e32 v25, v60, v5
	v_fma_f16 v3, v60, v23, -v3
	v_and_b32_e32 v24, 7, v16
	v_cndmask_b32_e64 v14, 0, 1, vcc_lo
	v_cmp_ne_u32_e32 vcc_lo, 0, v6
	v_lshrrev_b32_e32 v16, 2, v16
	v_mul_f64 v[8:9], v[8:9], s[2:3]
	v_cmp_eq_u32_e64 s0, 3, v24
	v_and_or_b32 v14, 0xffe, v18, v14
	v_cndmask_b32_e64 v6, 0, 1, vcc_lo
	v_cmp_gt_i32_e32 vcc_lo, 31, v21
	v_sub_nc_u32_e32 v18, 0x3f1, v19
	v_add_nc_u32_e32 v19, 0xfffffc10, v19
	v_or_b32_e32 v27, 0x1000, v14
	v_lshl_or_b32 v6, v6, 9, 0x7c00
	v_cndmask_b32_e32 v26, 0x7c00, v17, vcc_lo
	v_cmp_lt_i32_e32 vcc_lo, 5, v24
	v_cvt_f32_f16_e32 v24, v25
	v_med3_i32 v17, v18, 0, 13
	v_lshrrev_b32_e32 v15, 16, v15
	s_or_b32 vcc_lo, s0, vcc_lo
	v_add_co_ci_u32_e32 v25, vcc_lo, 0, v16, vcc_lo
	v_cmp_ne_u32_e32 vcc_lo, 0, v10
	v_lshrrev_b32_e32 v18, v17, v27
	v_and_or_b32 v8, 0x1ff, v9, v8
	v_cndmask_b32_e64 v10, 0, 1, vcc_lo
	v_cmp_gt_i32_e32 vcc_lo, 31, v22
	v_lshlrev_b32_e32 v28, v17, v18
	v_cvt_f64_f32_e32 v[16:17], v24
	v_lshl_or_b32 v10, v10, 9, 0x7c00
	v_cndmask_b32_e32 v24, 0x7c00, v25, vcc_lo
	v_cmp_eq_u32_e32 vcc_lo, 0x40f, v21
	v_cndmask_b32_e32 v6, v26, v6, vcc_lo
	v_cmp_ne_u32_e32 vcc_lo, v28, v27
	v_and_or_b32 v25, 0x8000, v7, v6
	v_cndmask_b32_e64 v21, 0, 1, vcc_lo
	v_cmp_eq_u32_e32 vcc_lo, 0x40f, v22
	v_lshrrev_b32_e32 v22, 8, v9
	v_or_b32_e32 v18, v18, v21
	v_cndmask_b32_e32 v10, v24, v10, vcc_lo
	v_cmp_ne_u32_e32 vcc_lo, 0, v8
	v_bfe_u32 v24, v9, 20, 11
	v_lshl_or_b32 v21, v19, 12, v14
	v_mul_f64 v[6:7], v[16:17], s[2:3]
	v_and_or_b32 v10, 0x8000, v11, v10
	v_cndmask_b32_e64 v8, 0, 1, vcc_lo
	v_cmp_gt_i32_e32 vcc_lo, 1, v19
	v_and_b32_e32 v11, 0xffff, v25
	v_lshrrev_b32_e32 v9, 16, v9
	v_and_or_b32 v8, 0xffe, v22, v8
	v_sub_nc_u32_e32 v22, 0x3f1, v24
	v_cndmask_b32_e32 v16, v21, v18, vcc_lo
	v_lshl_or_b32 v13, v10, 16, v11
	v_add_co_u32 v10, s1, v1, s5
	v_or_b32_e32 v17, 0x1000, v8
	v_med3_i32 v18, v22, 0, 13
	v_and_b32_e32 v21, 7, v16
	v_lshrrev_b32_e32 v16, 2, v16
	v_add_co_ci_u32_e64 v11, s1, s4, v2, s1
	v_lshrrev_b32_e32 v12, v18, v17
	v_cmp_lt_i32_e32 vcc_lo, 5, v21
	v_cmp_eq_u32_e64 s0, 3, v21
	v_cvt_f32_f16_e32 v1, v3
	v_and_or_b32 v3, 0x1ff, v7, v6
	v_lshlrev_b32_e32 v5, v18, v12
	v_bfe_u32 v18, v7, 20, 11
	s_or_b32 vcc_lo, s0, vcc_lo
	v_cvt_f64_f32_e32 v[1:2], v1
	v_add_co_ci_u32_e32 v6, vcc_lo, 0, v16, vcc_lo
	v_cmp_ne_u32_e64 s1, v5, v17
	v_cmp_ne_u32_e32 vcc_lo, 0, v14
	v_add_nc_u32_e32 v17, 0xfffffc10, v24
	v_lshrrev_b32_e32 v16, 8, v7
	v_mul_f16_sdwa v21, v59, v20 dst_sel:DWORD dst_unused:UNUSED_PAD src0_sel:WORD_1 src1_sel:DWORD
	v_cndmask_b32_e64 v5, 0, 1, s1
	v_cndmask_b32_e64 v14, 0, 1, vcc_lo
	v_cmp_ne_u32_e32 vcc_lo, 0, v3
	v_cmp_eq_u32_e64 s1, 0x40f, v19
	v_fmac_f16_e32 v21, v59, v0
	v_or_b32_e32 v5, v12, v5
	v_lshl_or_b32 v12, v17, 12, v8
	v_cndmask_b32_e64 v3, 0, 1, vcc_lo
	v_cmp_gt_i32_e32 vcc_lo, 1, v17
	v_lshl_or_b32 v14, v14, 9, 0x7c00
	v_mul_f16_sdwa v0, v59, v0 dst_sel:DWORD dst_unused:UNUSED_PAD src0_sel:WORD_1 src1_sel:DWORD
	global_store_dword v[10:11], v13, off
	v_and_or_b32 v16, 0xffe, v16, v3
	v_cndmask_b32_e32 v12, v12, v5, vcc_lo
	v_sub_nc_u32_e32 v3, 0x3f1, v18
	v_cmp_gt_i32_e32 vcc_lo, 31, v19
	v_add_nc_u32_e32 v18, 0xfffffc10, v18
	v_or_b32_e32 v22, 0x1000, v16
	v_and_b32_e32 v5, 7, v12
	v_med3_i32 v23, v3, 0, 13
	v_cndmask_b32_e32 v24, 0x7c00, v6, vcc_lo
	v_lshrrev_b32_e32 v12, 2, v12
	v_mul_f64 v[2:3], v[1:2], s[2:3]
	v_cmp_lt_i32_e32 vcc_lo, 5, v5
	v_cmp_eq_u32_e64 s0, 3, v5
	v_cvt_f32_f16_e32 v1, v21
	v_lshrrev_b32_e32 v21, v23, v22
	v_lshl_or_b32 v19, v18, 12, v16
	v_cndmask_b32_e64 v14, v24, v14, s1
	s_or_b32 vcc_lo, s0, vcc_lo
	v_cvt_f64_f32_e32 v[5:6], v1
	v_add_co_ci_u32_e32 v12, vcc_lo, 0, v12, vcc_lo
	v_lshlrev_b32_e32 v1, v23, v21
	v_cmp_ne_u32_e32 vcc_lo, 0, v8
	v_and_or_b32 v14, 0x8000, v15, v14
	v_fma_f16 v0, v59, v20, -v0
	v_cndmask_b32_e64 v8, 0, 1, vcc_lo
	v_cmp_ne_u32_e32 vcc_lo, v1, v22
	v_cvt_f32_f16_e32 v0, v0
	v_and_b32_e32 v14, 0xffff, v14
	v_lshrrev_b32_e32 v22, 16, v4
	v_lshl_or_b32 v8, v8, 9, 0x7c00
	v_cndmask_b32_e64 v1, 0, 1, vcc_lo
	v_cmp_gt_i32_e32 vcc_lo, 31, v17
	v_and_or_b32 v2, 0x1ff, v3, v2
	v_or_b32_e32 v1, v21, v1
	v_cndmask_b32_e32 v12, 0x7c00, v12, vcc_lo
	v_cmp_eq_u32_e32 vcc_lo, 0x40f, v17
	v_mul_f64 v[5:6], v[5:6], s[2:3]
	v_bfe_u32 v17, v3, 20, 11
	v_cndmask_b32_e32 v8, v12, v8, vcc_lo
	v_cmp_gt_i32_e32 vcc_lo, 1, v18
	v_lshrrev_b32_e32 v12, 8, v3
	v_lshrrev_b32_e32 v3, 16, v3
	v_and_or_b32 v8, 0x8000, v9, v8
	v_cndmask_b32_e32 v1, v19, v1, vcc_lo
	v_cmp_ne_u32_e32 vcc_lo, 0, v2
	v_and_b32_e32 v15, 7, v1
	v_cndmask_b32_e64 v2, 0, 1, vcc_lo
	v_cmp_lt_i32_e32 vcc_lo, 5, v15
	v_and_or_b32 v12, 0xffe, v12, v2
	v_sub_nc_u32_e32 v2, 0x3f1, v17
	v_cmp_eq_u32_e64 s0, 3, v15
	v_lshrrev_b32_e32 v15, 2, v1
	v_and_or_b32 v5, 0x1ff, v6, v5
	v_or_b32_e32 v9, 0x1000, v12
	v_med3_i32 v2, v2, 0, 13
	s_or_b32 vcc_lo, s0, vcc_lo
	v_cvt_f64_f32_e32 v[0:1], v0
	v_add_co_ci_u32_e32 v15, vcc_lo, 0, v15, vcc_lo
	v_lshrrev_b32_e32 v19, v2, v9
	v_cmp_gt_i32_e32 vcc_lo, 31, v18
	v_lshlrev_b32_e32 v20, v2, v19
	v_cndmask_b32_e32 v13, 0x7c00, v15, vcc_lo
	v_cmp_ne_u32_e32 vcc_lo, 0, v5
	v_lshl_or_b32 v2, v8, 16, v14
	v_lshrrev_b32_e32 v8, 8, v6
	v_bfe_u32 v14, v6, 20, 11
	v_add_nc_u32_e32 v15, 0xfffffc10, v17
	v_cndmask_b32_e64 v5, 0, 1, vcc_lo
	v_cmp_ne_u32_e32 vcc_lo, v20, v9
	v_lshl_or_b32 v21, v15, 12, v12
	v_and_or_b32 v5, 0xffe, v8, v5
	v_cndmask_b32_e64 v9, 0, 1, vcc_lo
	v_cmp_ne_u32_e32 vcc_lo, 0, v16
	v_sub_nc_u32_e32 v8, 0x3f1, v14
	v_add_nc_u32_e32 v14, 0xfffffc10, v14
	v_or_b32_e32 v17, v19, v9
	v_cndmask_b32_e64 v16, 0, 1, vcc_lo
	v_cmp_gt_i32_e32 vcc_lo, 1, v15
	v_or_b32_e32 v19, 0x1000, v5
	v_med3_i32 v20, v8, 0, 13
	v_mul_f64 v[8:9], v[0:1], s[2:3]
	v_lshl_or_b32 v16, v16, 9, 0x7c00
	v_cndmask_b32_e32 v17, v21, v17, vcc_lo
	v_mul_f16_sdwa v21, v58, v22 dst_sel:DWORD dst_unused:UNUSED_PAD src0_sel:WORD_1 src1_sel:DWORD
	v_lshrrev_b32_e32 v23, v20, v19
	v_mad_u64_u32 v[0:1], null, 0xffffea84, s8, v[10:11]
	v_and_b32_e32 v11, 7, v17
	v_cmp_eq_u32_e32 vcc_lo, 0x40f, v18
	v_lshlrev_b32_e32 v10, v20, v23
	v_fmac_f16_e32 v21, v58, v4
	v_lshrrev_b32_e32 v17, 2, v17
	v_cmp_eq_u32_e64 s0, 3, v11
	v_cndmask_b32_e32 v13, v13, v16, vcc_lo
	v_cmp_lt_i32_e32 vcc_lo, 5, v11
	v_cmp_ne_u32_e64 s1, v10, v19
	v_lshrrev_b32_e32 v16, 16, v7
	v_cvt_f32_f16_e32 v7, v21
	v_mul_f16_sdwa v4, v58, v4 dst_sel:DWORD dst_unused:UNUSED_PAD src0_sel:WORD_1 src1_sel:DWORD
	s_or_b32 vcc_lo, s0, vcc_lo
	v_cndmask_b32_e64 v18, 0, 1, s1
	v_add_co_ci_u32_e32 v17, vcc_lo, 0, v17, vcc_lo
	v_cmp_ne_u32_e32 vcc_lo, 0, v12
	v_cvt_f64_f32_e32 v[10:11], v7
	v_and_or_b32 v7, 0x1ff, v9, v8
	v_or_b32_e32 v8, v23, v18
	v_lshl_or_b32 v18, v14, 12, v5
	v_cndmask_b32_e64 v12, 0, 1, vcc_lo
	v_cmp_gt_i32_e32 vcc_lo, 1, v14
	v_bfe_u32 v19, v9, 20, 11
	v_and_or_b32 v13, 0x8000, v16, v13
	ds_read_b32 v16, v62 offset:7000
	v_lshl_or_b32 v12, v12, 9, 0x7c00
	v_cndmask_b32_e32 v18, v18, v8, vcc_lo
	v_cmp_ne_u32_e32 vcc_lo, 0, v7
	v_lshrrev_b32_e32 v8, 8, v9
	v_sub_nc_u32_e32 v23, 0x3f1, v19
	v_and_b32_e32 v13, 0xffff, v13
	v_and_b32_e32 v20, 7, v18
	v_cndmask_b32_e64 v7, 0, 1, vcc_lo
	v_cmp_gt_i32_e32 vcc_lo, 31, v15
	v_fma_f16 v4, v58, v22, -v4
	v_add_nc_u32_e32 v1, s6, v1
	v_cmp_eq_u32_e64 s0, 3, v20
	v_and_or_b32 v21, 0xffe, v8, v7
	v_cndmask_b32_e32 v17, 0x7c00, v17, vcc_lo
	v_cmp_eq_u32_e32 vcc_lo, 0x40f, v15
	v_mul_f64 v[7:8], v[10:11], s[2:3]
	v_lshrrev_b32_e32 v15, 2, v18
	v_or_b32_e32 v11, 0x1000, v21
	v_add_nc_u32_e32 v18, 0xfffffc10, v19
	v_cndmask_b32_e32 v10, v17, v12, vcc_lo
	v_med3_i32 v12, v23, 0, 13
	v_cmp_lt_i32_e32 vcc_lo, 5, v20
	v_lshrrev_b32_e32 v9, 16, v9
	v_and_or_b32 v3, 0x8000, v3, v10
	v_lshrrev_b32_e32 v10, v12, v11
	s_or_b32 vcc_lo, s0, vcc_lo
	v_add_co_ci_u32_e32 v15, vcc_lo, 0, v15, vcc_lo
	v_lshlrev_b32_e32 v12, v12, v10
	v_cmp_ne_u32_e32 vcc_lo, 0, v5
	v_lshl_or_b32 v17, v3, 16, v13
	v_cvt_f32_f16_e32 v3, v4
	s_waitcnt lgkmcnt(0)
	v_lshrrev_b32_e32 v13, 16, v16
	v_cndmask_b32_e64 v5, 0, 1, vcc_lo
	v_cmp_ne_u32_e32 vcc_lo, v12, v11
	v_and_or_b32 v7, 0x1ff, v8, v7
	v_bfe_u32 v19, v8, 20, 11
	v_cvt_f64_f32_e32 v[3:4], v3
	v_mul_f16_sdwa v20, v57, v13 dst_sel:DWORD dst_unused:UNUSED_PAD src0_sel:WORD_1 src1_sel:DWORD
	v_cndmask_b32_e64 v11, 0, 1, vcc_lo
	v_cmp_gt_i32_e32 vcc_lo, 31, v14
	v_lshl_or_b32 v5, v5, 9, 0x7c00
	v_fmac_f16_e32 v20, v57, v16
	v_or_b32_e32 v10, v10, v11
	v_cndmask_b32_e32 v12, 0x7c00, v15, vcc_lo
	v_cmp_ne_u32_e32 vcc_lo, 0, v7
	v_lshrrev_b32_e32 v15, 8, v8
	v_lshl_or_b32 v11, v18, 12, v21
	v_lshrrev_b32_e32 v8, 16, v8
	v_cndmask_b32_e64 v7, 0, 1, vcc_lo
	v_cmp_gt_i32_e32 vcc_lo, 1, v18
	v_and_or_b32 v7, 0xffe, v15, v7
	v_sub_nc_u32_e32 v15, 0x3f1, v19
	v_cndmask_b32_e32 v22, v11, v10, vcc_lo
	v_cmp_eq_u32_e32 vcc_lo, 0x40f, v14
	v_cvt_f32_f16_e32 v10, v20
	v_or_b32_e32 v23, 0x1000, v7
	v_med3_i32 v15, v15, 0, 13
	v_and_b32_e32 v24, 7, v22
	v_cndmask_b32_e32 v14, v12, v5, vcc_lo
	v_mul_f16_sdwa v12, v57, v16 dst_sel:DWORD dst_unused:UNUSED_PAD src0_sel:WORD_1 src1_sel:DWORD
	v_lshrrev_b32_e32 v16, 16, v6
	v_lshrrev_b32_e32 v5, v15, v23
	v_cmp_lt_i32_e32 vcc_lo, 5, v24
	v_cmp_eq_u32_e64 s0, 3, v24
	v_lshrrev_b32_e32 v6, 2, v22
	v_cvt_f64_f32_e32 v[10:11], v10
	v_lshlrev_b32_e32 v15, v15, v5
	v_fma_f16 v12, v57, v13, -v12
	s_or_b32 vcc_lo, s0, vcc_lo
	v_mul_f64 v[3:4], v[3:4], s[2:3]
	v_add_co_ci_u32_e32 v13, vcc_lo, 0, v6, vcc_lo
	v_cmp_ne_u32_e32 vcc_lo, v15, v23
	v_add_nc_u32_e32 v15, 0xfffffc10, v19
	v_cvt_f32_f16_e32 v12, v12
	v_and_or_b32 v14, 0x8000, v16, v14
	v_cndmask_b32_e64 v6, 0, 1, vcc_lo
	v_cmp_ne_u32_e32 vcc_lo, 0, v21
	v_lshl_or_b32 v21, v15, 12, v7
	v_and_b32_e32 v14, 0xffff, v14
	v_or_b32_e32 v20, v5, v6
	v_cndmask_b32_e64 v19, 0, 1, vcc_lo
	v_cmp_gt_i32_e32 vcc_lo, 31, v18
	v_cvt_f64_f32_e32 v[5:6], v12
	v_mul_f64 v[10:11], v[10:11], s[2:3]
	v_lshl_or_b32 v19, v19, 9, 0x7c00
	v_cndmask_b32_e32 v22, 0x7c00, v13, vcc_lo
	v_add_co_u32 v12, vcc_lo, v0, s5
	v_add_co_ci_u32_e32 v13, vcc_lo, s4, v1, vcc_lo
	v_cmp_gt_i32_e32 vcc_lo, 1, v15
	v_and_or_b32 v3, 0x1ff, v4, v3
	v_cndmask_b32_e32 v20, v21, v20, vcc_lo
	v_cmp_eq_u32_e32 vcc_lo, 0x40f, v18
	v_bfe_u32 v21, v4, 20, 11
	v_cndmask_b32_e32 v18, v22, v19, vcc_lo
	v_cmp_ne_u32_e32 vcc_lo, 0, v3
	v_lshrrev_b32_e32 v19, 8, v4
	v_and_b32_e32 v22, 7, v20
	v_sub_nc_u32_e32 v16, 0x3f1, v21
	v_mul_f64 v[5:6], v[5:6], s[2:3]
	v_cndmask_b32_e64 v3, 0, 1, vcc_lo
	v_and_or_b32 v9, 0x8000, v9, v18
	v_cmp_lt_i32_e32 vcc_lo, 5, v22
	v_cmp_eq_u32_e64 s0, 3, v22
	v_med3_i32 v16, v16, 0, 13
	v_and_or_b32 v3, 0xffe, v19, v3
	v_lshrrev_b32_e32 v19, 2, v20
	v_and_or_b32 v10, 0x1ff, v11, v10
	s_or_b32 vcc_lo, s0, vcc_lo
	v_lshrrev_b32_e32 v22, 8, v11
	v_or_b32_e32 v18, 0x1000, v3
	v_add_co_ci_u32_e32 v19, vcc_lo, 0, v19, vcc_lo
	v_cmp_ne_u32_e32 vcc_lo, 0, v10
	v_bfe_u32 v23, v11, 20, 11
	v_lshrrev_b32_e32 v20, v16, v18
	v_lshrrev_b32_e32 v4, 16, v4
	;; [unrolled: 1-line block ×3, first 2 shown]
	v_cndmask_b32_e64 v10, 0, 1, vcc_lo
	v_cmp_ne_u32_e32 vcc_lo, 0, v7
	v_lshlrev_b32_e32 v16, v16, v20
	v_and_or_b32 v5, 0x1ff, v6, v5
	v_lshrrev_b32_e32 v24, 8, v6
	v_and_or_b32 v10, 0xffe, v22, v10
	v_cndmask_b32_e64 v7, 0, 1, vcc_lo
	v_cmp_ne_u32_e32 vcc_lo, v16, v18
	v_sub_nc_u32_e32 v22, 0x3f1, v23
	v_add_nc_u32_e32 v18, 0xfffffc10, v21
	v_or_b32_e32 v21, 0x1000, v10
	v_bfe_u32 v25, v6, 20, 11
	v_cndmask_b32_e64 v16, 0, 1, vcc_lo
	v_cmp_gt_i32_e32 vcc_lo, 31, v15
	v_med3_i32 v22, v22, 0, 13
	v_lshl_or_b32 v7, v7, 9, 0x7c00
	v_lshl_or_b32 v9, v9, 16, v14
	v_or_b32_e32 v16, v20, v16
	v_cndmask_b32_e32 v19, 0x7c00, v19, vcc_lo
	v_cmp_ne_u32_e32 vcc_lo, 0, v5
	v_lshl_or_b32 v20, v18, 12, v3
	v_lshrrev_b32_e32 v26, v22, v21
	v_lshrrev_b32_e32 v6, 16, v6
	v_cndmask_b32_e64 v5, 0, 1, vcc_lo
	v_cmp_gt_i32_e32 vcc_lo, 1, v18
	v_and_or_b32 v5, 0xffe, v24, v5
	v_sub_nc_u32_e32 v24, 0x3f1, v25
	v_cndmask_b32_e32 v16, v20, v16, vcc_lo
	v_lshlrev_b32_e32 v20, v22, v26
	v_cmp_eq_u32_e32 vcc_lo, 0x40f, v15
	v_or_b32_e32 v22, 0x1000, v5
	v_med3_i32 v24, v24, 0, 13
	v_and_b32_e32 v27, 7, v16
	v_lshrrev_b32_e32 v16, 2, v16
	v_cndmask_b32_e32 v7, v19, v7, vcc_lo
	v_cmp_ne_u32_e32 vcc_lo, v20, v21
	v_add_nc_u32_e32 v19, 0xfffffc10, v23
	v_lshrrev_b32_e32 v20, v24, v22
	v_cmp_eq_u32_e64 s0, 3, v27
	v_and_or_b32 v7, 0x8000, v8, v7
	v_cndmask_b32_e64 v15, 0, 1, vcc_lo
	v_lshl_or_b32 v21, v19, 12, v10
	v_lshlrev_b32_e32 v23, v24, v20
	v_cmp_gt_i32_e64 s1, 1, v19
	v_cmp_lt_i32_e32 vcc_lo, 5, v27
	v_or_b32_e32 v15, v26, v15
	v_and_b32_e32 v7, 0xffff, v7
	s_or_b32 vcc_lo, s0, vcc_lo
	v_cndmask_b32_e64 v15, v21, v15, s1
	v_cmp_ne_u32_e64 s1, v23, v22
	v_add_nc_u32_e32 v22, 0xfffffc10, v25
	v_add_co_ci_u32_e32 v16, vcc_lo, 0, v16, vcc_lo
	v_and_b32_e32 v23, 7, v15
	v_cndmask_b32_e64 v21, 0, 1, s1
	v_cmp_ne_u32_e32 vcc_lo, 0, v3
	v_cmp_gt_i32_e64 s0, 1, v22
	v_lshrrev_b32_e32 v15, 2, v15
	v_cmp_gt_i32_e64 s1, 31, v18
	v_or_b32_e32 v20, v20, v21
	v_lshl_or_b32 v21, v22, 12, v5
	v_cndmask_b32_e64 v3, 0, 1, vcc_lo
	v_cmp_lt_i32_e32 vcc_lo, 5, v23
	v_cndmask_b32_e64 v16, 0x7c00, v16, s1
	v_cmp_eq_u32_e64 s1, 0x40f, v18
	v_cndmask_b32_e64 v8, v21, v20, s0
	v_cmp_eq_u32_e64 s0, 3, v23
	v_lshl_or_b32 v3, v3, 9, 0x7c00
	v_and_b32_e32 v20, 7, v8
	s_or_b32 vcc_lo, s0, vcc_lo
	v_lshrrev_b32_e32 v8, 2, v8
	v_add_co_ci_u32_e32 v15, vcc_lo, 0, v15, vcc_lo
	v_cmp_ne_u32_e32 vcc_lo, 0, v10
	v_cmp_eq_u32_e64 s0, 3, v20
	v_cndmask_b32_e64 v3, v16, v3, s1
	v_cmp_gt_i32_e64 s1, 31, v19
	v_cndmask_b32_e64 v10, 0, 1, vcc_lo
	v_cmp_lt_i32_e32 vcc_lo, 5, v20
	v_and_or_b32 v14, 0x8000, v4, v3
	v_cndmask_b32_e64 v15, 0x7c00, v15, s1
	v_lshl_or_b32 v10, v10, 9, 0x7c00
	s_or_b32 vcc_lo, s0, vcc_lo
	v_add_co_ci_u32_e32 v8, vcc_lo, 0, v8, vcc_lo
	v_cmp_ne_u32_e32 vcc_lo, 0, v5
	v_cndmask_b32_e64 v5, 0, 1, vcc_lo
	v_cmp_eq_u32_e32 vcc_lo, 0x40f, v19
	v_lshl_or_b32 v5, v5, 9, 0x7c00
	v_cndmask_b32_e32 v10, v15, v10, vcc_lo
	v_cmp_gt_i32_e32 vcc_lo, 31, v22
	v_and_or_b32 v10, 0x8000, v11, v10
	v_cndmask_b32_e32 v8, 0x7c00, v8, vcc_lo
	v_cmp_eq_u32_e32 vcc_lo, 0x40f, v22
	v_lshl_or_b32 v11, v14, 16, v7
	v_cndmask_b32_e32 v5, v8, v5, vcc_lo
	v_add_co_u32 v3, vcc_lo, v12, s5
	v_add_co_ci_u32_e32 v4, vcc_lo, s4, v13, vcc_lo
	v_and_or_b32 v7, 0x8000, v6, v5
	v_and_b32_e32 v8, 0xffff, v10
	v_add_co_u32 v5, vcc_lo, v3, s5
	v_add_co_ci_u32_e32 v6, vcc_lo, s4, v4, vcc_lo
	v_lshl_or_b32 v10, v7, 16, v8
	v_add_co_u32 v7, vcc_lo, v5, s5
	v_add_co_ci_u32_e32 v8, vcc_lo, s4, v6, vcc_lo
	global_store_dword v[0:1], v2, off
	global_store_dword v[12:13], v17, off
	;; [unrolled: 1-line block ×5, first 2 shown]
.LBB0_2:
	s_endpgm
	.section	.rodata,"a",@progbits
	.p2align	6, 0x0
	.amdhsa_kernel bluestein_single_back_len1875_dim1_half_op_CI_CI
		.amdhsa_group_segment_fixed_size 15000
		.amdhsa_private_segment_fixed_size 0
		.amdhsa_kernarg_size 104
		.amdhsa_user_sgpr_count 6
		.amdhsa_user_sgpr_private_segment_buffer 1
		.amdhsa_user_sgpr_dispatch_ptr 0
		.amdhsa_user_sgpr_queue_ptr 0
		.amdhsa_user_sgpr_kernarg_segment_ptr 1
		.amdhsa_user_sgpr_dispatch_id 0
		.amdhsa_user_sgpr_flat_scratch_init 0
		.amdhsa_user_sgpr_private_segment_size 0
		.amdhsa_wavefront_size32 1
		.amdhsa_uses_dynamic_stack 0
		.amdhsa_system_sgpr_private_segment_wavefront_offset 0
		.amdhsa_system_sgpr_workgroup_id_x 1
		.amdhsa_system_sgpr_workgroup_id_y 0
		.amdhsa_system_sgpr_workgroup_id_z 0
		.amdhsa_system_sgpr_workgroup_info 0
		.amdhsa_system_vgpr_workitem_id 0
		.amdhsa_next_free_vgpr 139
		.amdhsa_next_free_sgpr 20
		.amdhsa_reserve_vcc 1
		.amdhsa_reserve_flat_scratch 0
		.amdhsa_float_round_mode_32 0
		.amdhsa_float_round_mode_16_64 0
		.amdhsa_float_denorm_mode_32 3
		.amdhsa_float_denorm_mode_16_64 3
		.amdhsa_dx10_clamp 1
		.amdhsa_ieee_mode 1
		.amdhsa_fp16_overflow 0
		.amdhsa_workgroup_processor_mode 1
		.amdhsa_memory_ordered 1
		.amdhsa_forward_progress 0
		.amdhsa_shared_vgpr_count 0
		.amdhsa_exception_fp_ieee_invalid_op 0
		.amdhsa_exception_fp_denorm_src 0
		.amdhsa_exception_fp_ieee_div_zero 0
		.amdhsa_exception_fp_ieee_overflow 0
		.amdhsa_exception_fp_ieee_underflow 0
		.amdhsa_exception_fp_ieee_inexact 0
		.amdhsa_exception_int_div_zero 0
	.end_amdhsa_kernel
	.text
.Lfunc_end0:
	.size	bluestein_single_back_len1875_dim1_half_op_CI_CI, .Lfunc_end0-bluestein_single_back_len1875_dim1_half_op_CI_CI
                                        ; -- End function
	.section	.AMDGPU.csdata,"",@progbits
; Kernel info:
; codeLenInByte = 26372
; NumSgprs: 22
; NumVgprs: 139
; ScratchSize: 0
; MemoryBound: 0
; FloatMode: 240
; IeeeMode: 1
; LDSByteSize: 15000 bytes/workgroup (compile time only)
; SGPRBlocks: 2
; VGPRBlocks: 17
; NumSGPRsForWavesPerEU: 22
; NumVGPRsForWavesPerEU: 139
; Occupancy: 7
; WaveLimiterHint : 1
; COMPUTE_PGM_RSRC2:SCRATCH_EN: 0
; COMPUTE_PGM_RSRC2:USER_SGPR: 6
; COMPUTE_PGM_RSRC2:TRAP_HANDLER: 0
; COMPUTE_PGM_RSRC2:TGID_X_EN: 1
; COMPUTE_PGM_RSRC2:TGID_Y_EN: 0
; COMPUTE_PGM_RSRC2:TGID_Z_EN: 0
; COMPUTE_PGM_RSRC2:TIDIG_COMP_CNT: 0
	.text
	.p2alignl 6, 3214868480
	.fill 48, 4, 3214868480
	.type	__hip_cuid_c2741d4b208bef2f,@object ; @__hip_cuid_c2741d4b208bef2f
	.section	.bss,"aw",@nobits
	.globl	__hip_cuid_c2741d4b208bef2f
__hip_cuid_c2741d4b208bef2f:
	.byte	0                               ; 0x0
	.size	__hip_cuid_c2741d4b208bef2f, 1

	.ident	"AMD clang version 19.0.0git (https://github.com/RadeonOpenCompute/llvm-project roc-6.4.0 25133 c7fe45cf4b819c5991fe208aaa96edf142730f1d)"
	.section	".note.GNU-stack","",@progbits
	.addrsig
	.addrsig_sym __hip_cuid_c2741d4b208bef2f
	.amdgpu_metadata
---
amdhsa.kernels:
  - .args:
      - .actual_access:  read_only
        .address_space:  global
        .offset:         0
        .size:           8
        .value_kind:     global_buffer
      - .actual_access:  read_only
        .address_space:  global
        .offset:         8
        .size:           8
        .value_kind:     global_buffer
      - .actual_access:  read_only
        .address_space:  global
        .offset:         16
        .size:           8
        .value_kind:     global_buffer
      - .actual_access:  read_only
        .address_space:  global
        .offset:         24
        .size:           8
        .value_kind:     global_buffer
      - .actual_access:  read_only
        .address_space:  global
        .offset:         32
        .size:           8
        .value_kind:     global_buffer
      - .offset:         40
        .size:           8
        .value_kind:     by_value
      - .address_space:  global
        .offset:         48
        .size:           8
        .value_kind:     global_buffer
      - .address_space:  global
        .offset:         56
        .size:           8
        .value_kind:     global_buffer
      - .address_space:  global
        .offset:         64
        .size:           8
        .value_kind:     global_buffer
      - .address_space:  global
        .offset:         72
        .size:           8
        .value_kind:     global_buffer
      - .offset:         80
        .size:           4
        .value_kind:     by_value
      - .address_space:  global
        .offset:         88
        .size:           8
        .value_kind:     global_buffer
      - .address_space:  global
        .offset:         96
        .size:           8
        .value_kind:     global_buffer
    .group_segment_fixed_size: 15000
    .kernarg_segment_align: 8
    .kernarg_segment_size: 104
    .language:       OpenCL C
    .language_version:
      - 2
      - 0
    .max_flat_workgroup_size: 250
    .name:           bluestein_single_back_len1875_dim1_half_op_CI_CI
    .private_segment_fixed_size: 0
    .sgpr_count:     22
    .sgpr_spill_count: 0
    .symbol:         bluestein_single_back_len1875_dim1_half_op_CI_CI.kd
    .uniform_work_group_size: 1
    .uses_dynamic_stack: false
    .vgpr_count:     139
    .vgpr_spill_count: 0
    .wavefront_size: 32
    .workgroup_processor_mode: 1
amdhsa.target:   amdgcn-amd-amdhsa--gfx1030
amdhsa.version:
  - 1
  - 2
...

	.end_amdgpu_metadata
